;; amdgpu-corpus repo=ROCm/hip-tests kind=compiled arch=gfx90a opt=O3
	.text
	.amdgcn_target "amdgcn-amd-amdhsa--gfx90a"
	.amdhsa_code_object_version 6
	.protected	_ZN19hipPrintfStressTest22kernel_printf_conststrEj ; -- Begin function _ZN19hipPrintfStressTest22kernel_printf_conststrEj
	.globl	_ZN19hipPrintfStressTest22kernel_printf_conststrEj
	.p2align	8
	.type	_ZN19hipPrintfStressTest22kernel_printf_conststrEj,@function
_ZN19hipPrintfStressTest22kernel_printf_conststrEj: ; @_ZN19hipPrintfStressTest22kernel_printf_conststrEj
; %bb.0:
	s_load_dword s26, s[4:5], 0x0
	s_mov_b32 s8, 0
	s_waitcnt lgkmcnt(0)
	s_cmp_eq_u32 s26, 0
	s_cbranch_scc1 .LBB0_255
; %bb.1:
	s_load_dwordx2 s[2:3], s[4:5], 0x58
	s_getpc_b64 s[0:1]
	s_add_u32 s0, s0, .str@rel32@lo+4
	s_addc_u32 s1, s1, .str@rel32@hi+12
	s_cmp_lg_u64 s[0:1], 0
	v_mbcnt_lo_u32_b32 v0, -1, 0
	s_cselect_b64 s[4:5], -1, 0
	s_getpc_b64 s[0:1]
	s_add_u32 s0, s0, .str.1@rel32@lo+4
	s_addc_u32 s1, s1, .str.1@rel32@hi+12
	s_mov_b32 s10, s8
	s_mov_b32 s11, s8
	v_mbcnt_hi_u32_b32 v38, -1, v0
	v_mov_b32_e32 v3, 0
	s_cmp_lg_u64 s[0:1], 0
	s_mov_b32 s9, s8
	v_pk_mov_b32 v[14:15], s[10:11], s[10:11] op_sel:[0,1]
	s_cselect_b64 s[6:7], -1, 0
	v_lshlrev_b32_e32 v39, 6, v38
	s_movk_i32 s27, 0xff1f
	s_movk_i32 s28, 0xff1d
	v_mov_b32_e32 v6, 2
	v_mov_b32_e32 v7, 1
	;; [unrolled: 1-line block ×6, first 2 shown]
	v_pk_mov_b32 v[12:13], s[8:9], s[8:9] op_sel:[0,1]
	s_mov_b32 s29, s8
	s_branch .LBB0_4
.LBB0_2:                                ;   in Loop: Header=BB0_4 Depth=1
	s_or_b64 exec, exec, s[14:15]
.LBB0_3:                                ;   in Loop: Header=BB0_4 Depth=1
	s_add_i32 s29, s29, 1
	s_cmp_eq_u32 s29, s26
	s_cbranch_scc1 .LBB0_255
.LBB0_4:                                ; =>This Loop Header: Depth=1
                                        ;     Child Loop BB0_7 Depth 2
                                        ;     Child Loop BB0_15 Depth 2
	;; [unrolled: 1-line block ×9, first 2 shown]
                                        ;       Child Loop BB0_36 Depth 3
                                        ;       Child Loop BB0_43 Depth 3
	;; [unrolled: 1-line block ×11, first 2 shown]
                                        ;     Child Loop BB0_232 Depth 2
                                        ;     Child Loop BB0_240 Depth 2
	;; [unrolled: 1-line block ×5, first 2 shown]
                                        ;       Child Loop BB0_121 Depth 3
                                        ;       Child Loop BB0_128 Depth 3
	;; [unrolled: 1-line block ×11, first 2 shown]
	v_readfirstlane_b32 s0, v38
	v_cmp_eq_u32_e64 s[0:1], s0, v38
	s_waitcnt vmcnt(0)
	v_pk_mov_b32 v[0:1], 0, 0
	s_and_saveexec_b64 s[12:13], s[0:1]
	s_cbranch_execz .LBB0_10
; %bb.5:                                ;   in Loop: Header=BB0_4 Depth=1
	s_waitcnt lgkmcnt(0)
	global_load_dwordx2 v[18:19], v3, s[2:3] offset:24 glc
	s_waitcnt vmcnt(0)
	buffer_invl2
	buffer_wbinvl1_vol
	global_load_dwordx2 v[0:1], v3, s[2:3] offset:40
	global_load_dwordx2 v[4:5], v3, s[2:3]
	s_waitcnt vmcnt(1)
	v_and_b32_e32 v0, v0, v18
	v_and_b32_e32 v1, v1, v19
	v_mul_lo_u32 v1, v1, 24
	v_mul_hi_u32 v2, v0, 24
	v_mul_lo_u32 v0, v0, 24
	v_add_u32_e32 v1, v2, v1
	s_waitcnt vmcnt(0)
	v_add_co_u32_e32 v0, vcc, v4, v0
	v_addc_co_u32_e32 v1, vcc, v5, v1, vcc
	global_load_dwordx2 v[16:17], v[0:1], off glc
	s_waitcnt vmcnt(0)
	global_atomic_cmpswap_x2 v[0:1], v3, v[16:19], s[2:3] offset:24 glc
	s_waitcnt vmcnt(0)
	buffer_invl2
	buffer_wbinvl1_vol
	v_cmp_ne_u64_e32 vcc, v[0:1], v[18:19]
	s_and_saveexec_b64 s[14:15], vcc
	s_cbranch_execz .LBB0_9
; %bb.6:                                ;   in Loop: Header=BB0_4 Depth=1
	s_mov_b64 s[16:17], 0
.LBB0_7:                                ;   Parent Loop BB0_4 Depth=1
                                        ; =>  This Inner Loop Header: Depth=2
	s_sleep 1
	global_load_dwordx2 v[4:5], v3, s[2:3] offset:40
	global_load_dwordx2 v[16:17], v3, s[2:3]
	v_pk_mov_b32 v[18:19], v[0:1], v[0:1] op_sel:[0,1]
	s_waitcnt vmcnt(1)
	v_and_b32_e32 v0, v4, v18
	s_waitcnt vmcnt(0)
	v_mad_u64_u32 v[0:1], s[18:19], v0, 24, v[16:17]
	v_and_b32_e32 v5, v5, v19
	v_mov_b32_e32 v2, v1
	v_mad_u64_u32 v[4:5], s[18:19], v5, 24, v[2:3]
	v_mov_b32_e32 v1, v4
	global_load_dwordx2 v[16:17], v[0:1], off glc
	s_waitcnt vmcnt(0)
	global_atomic_cmpswap_x2 v[0:1], v3, v[16:19], s[2:3] offset:24 glc
	s_waitcnt vmcnt(0)
	buffer_invl2
	buffer_wbinvl1_vol
	v_cmp_eq_u64_e32 vcc, v[0:1], v[18:19]
	s_or_b64 s[16:17], vcc, s[16:17]
	s_andn2_b64 exec, exec, s[16:17]
	s_cbranch_execnz .LBB0_7
; %bb.8:                                ;   in Loop: Header=BB0_4 Depth=1
	s_or_b64 exec, exec, s[16:17]
.LBB0_9:                                ;   in Loop: Header=BB0_4 Depth=1
	s_or_b64 exec, exec, s[14:15]
.LBB0_10:                               ;   in Loop: Header=BB0_4 Depth=1
	s_or_b64 exec, exec, s[12:13]
	s_waitcnt lgkmcnt(0)
	global_load_dwordx2 v[4:5], v3, s[2:3] offset:40
	global_load_dwordx4 v[16:19], v3, s[2:3]
	v_readfirstlane_b32 s12, v0
	v_readfirstlane_b32 s13, v1
	s_mov_b64 s[14:15], exec
	s_waitcnt vmcnt(1)
	v_readfirstlane_b32 s16, v4
	v_readfirstlane_b32 s17, v5
	s_and_b64 s[16:17], s[12:13], s[16:17]
	s_mul_i32 s18, s17, 24
	s_mul_hi_u32 s19, s16, 24
	s_mul_i32 s20, s16, 24
	s_add_i32 s18, s19, s18
	v_mov_b32_e32 v1, s18
	s_waitcnt vmcnt(0)
	v_add_co_u32_e32 v0, vcc, s20, v16
	v_addc_co_u32_e32 v1, vcc, v17, v1, vcc
	s_and_saveexec_b64 s[18:19], s[0:1]
	s_cbranch_execz .LBB0_12
; %bb.11:                               ;   in Loop: Header=BB0_4 Depth=1
	v_pk_mov_b32 v[4:5], s[14:15], s[14:15] op_sel:[0,1]
	global_store_dwordx4 v[0:1], v[4:7], off offset:8
.LBB0_12:                               ;   in Loop: Header=BB0_4 Depth=1
	s_or_b64 exec, exec, s[18:19]
	s_lshl_b64 s[14:15], s[16:17], 12
	v_mov_b32_e32 v2, s15
	v_add_co_u32_e32 v4, vcc, s14, v18
	v_addc_co_u32_e32 v5, vcc, v19, v2, vcc
	v_readfirstlane_b32 s14, v4
	v_readfirstlane_b32 s15, v5
	s_nop 4
	global_store_dwordx4 v39, v[8:11], s[14:15]
	global_store_dwordx4 v39, v[12:15], s[14:15] offset:16
	global_store_dwordx4 v39, v[12:15], s[14:15] offset:32
	;; [unrolled: 1-line block ×3, first 2 shown]
	s_and_saveexec_b64 s[14:15], s[0:1]
	s_cbranch_execz .LBB0_20
; %bb.13:                               ;   in Loop: Header=BB0_4 Depth=1
	global_load_dwordx2 v[24:25], v3, s[2:3] offset:32 glc
	global_load_dwordx2 v[18:19], v3, s[2:3] offset:40
	v_mov_b32_e32 v22, s12
	v_mov_b32_e32 v23, s13
	s_waitcnt vmcnt(0)
	v_readfirstlane_b32 s16, v18
	v_readfirstlane_b32 s17, v19
	s_and_b64 s[16:17], s[16:17], s[12:13]
	s_mul_i32 s17, s17, 24
	s_mul_hi_u32 s18, s16, 24
	s_mul_i32 s16, s16, 24
	s_add_i32 s17, s18, s17
	v_mov_b32_e32 v2, s17
	v_add_co_u32_e32 v20, vcc, s16, v16
	v_addc_co_u32_e32 v21, vcc, v17, v2, vcc
	global_store_dwordx2 v[20:21], v[24:25], off
	buffer_wbl2
	s_waitcnt vmcnt(0)
	global_atomic_cmpswap_x2 v[18:19], v3, v[22:25], s[2:3] offset:32 glc
	s_waitcnt vmcnt(0)
	v_cmp_ne_u64_e32 vcc, v[18:19], v[24:25]
	s_and_saveexec_b64 s[16:17], vcc
	s_cbranch_execz .LBB0_16
; %bb.14:                               ;   in Loop: Header=BB0_4 Depth=1
	s_mov_b64 s[18:19], 0
.LBB0_15:                               ;   Parent Loop BB0_4 Depth=1
                                        ; =>  This Inner Loop Header: Depth=2
	s_sleep 1
	global_store_dwordx2 v[20:21], v[18:19], off
	v_mov_b32_e32 v16, s12
	v_mov_b32_e32 v17, s13
	buffer_wbl2
	s_waitcnt vmcnt(0)
	global_atomic_cmpswap_x2 v[16:17], v3, v[16:19], s[2:3] offset:32 glc
	s_waitcnt vmcnt(0)
	v_cmp_eq_u64_e32 vcc, v[16:17], v[18:19]
	s_or_b64 s[18:19], vcc, s[18:19]
	v_pk_mov_b32 v[18:19], v[16:17], v[16:17] op_sel:[0,1]
	s_andn2_b64 exec, exec, s[18:19]
	s_cbranch_execnz .LBB0_15
.LBB0_16:                               ;   in Loop: Header=BB0_4 Depth=1
	s_or_b64 exec, exec, s[16:17]
	global_load_dwordx2 v[16:17], v3, s[2:3] offset:16
	s_mov_b64 s[18:19], exec
	v_mbcnt_lo_u32_b32 v2, s18, 0
	v_mbcnt_hi_u32_b32 v2, s19, v2
	v_cmp_eq_u32_e32 vcc, 0, v2
	s_and_saveexec_b64 s[16:17], vcc
	s_cbranch_execz .LBB0_18
; %bb.17:                               ;   in Loop: Header=BB0_4 Depth=1
	s_bcnt1_i32_b64 s18, s[18:19]
	v_mov_b32_e32 v2, s18
	buffer_wbl2
	s_waitcnt vmcnt(0)
	global_atomic_add_x2 v[16:17], v[2:3], off offset:8
.LBB0_18:                               ;   in Loop: Header=BB0_4 Depth=1
	s_or_b64 exec, exec, s[16:17]
	s_waitcnt vmcnt(0)
	global_load_dwordx2 v[18:19], v[16:17], off offset:16
	s_waitcnt vmcnt(0)
	v_cmp_eq_u64_e32 vcc, 0, v[18:19]
	s_cbranch_vccnz .LBB0_20
; %bb.19:                               ;   in Loop: Header=BB0_4 Depth=1
	global_load_dword v2, v[16:17], off offset:24
	buffer_wbl2
	s_waitcnt vmcnt(0)
	global_store_dwordx2 v[18:19], v[2:3], off
	v_and_b32_e32 v2, 0xffffff, v2
	v_readfirstlane_b32 m0, v2
	s_sendmsg sendmsg(MSG_INTERRUPT)
.LBB0_20:                               ;   in Loop: Header=BB0_4 Depth=1
	s_or_b64 exec, exec, s[14:15]
	v_add_co_u32_e32 v4, vcc, v4, v39
	v_addc_co_u32_e32 v5, vcc, 0, v5, vcc
	s_branch .LBB0_24
.LBB0_21:                               ;   in Loop: Header=BB0_24 Depth=2
	s_or_b64 exec, exec, s[14:15]
	v_readfirstlane_b32 s14, v2
	s_cmp_eq_u32 s14, 0
	s_cbranch_scc1 .LBB0_23
; %bb.22:                               ;   in Loop: Header=BB0_24 Depth=2
	s_sleep 1
	s_cbranch_execnz .LBB0_24
	s_branch .LBB0_26
.LBB0_23:                               ;   in Loop: Header=BB0_4 Depth=1
	s_branch .LBB0_26
.LBB0_24:                               ;   Parent Loop BB0_4 Depth=1
                                        ; =>  This Inner Loop Header: Depth=2
	v_mov_b32_e32 v2, 1
	s_and_saveexec_b64 s[14:15], s[0:1]
	s_cbranch_execz .LBB0_21
; %bb.25:                               ;   in Loop: Header=BB0_24 Depth=2
	global_load_dword v2, v[0:1], off offset:20 glc
	s_waitcnt vmcnt(0)
	buffer_invl2
	buffer_wbinvl1_vol
	v_and_b32_e32 v2, 1, v2
	s_branch .LBB0_21
.LBB0_26:                               ;   in Loop: Header=BB0_4 Depth=1
	global_load_dwordx2 v[0:1], v[4:5], off
	s_and_saveexec_b64 s[14:15], s[0:1]
	s_cbranch_execz .LBB0_30
; %bb.27:                               ;   in Loop: Header=BB0_4 Depth=1
	global_load_dwordx2 v[4:5], v3, s[2:3] offset:40
	global_load_dwordx2 v[20:21], v3, s[2:3] offset:24 glc
	global_load_dwordx2 v[22:23], v3, s[2:3]
	v_mov_b32_e32 v2, s13
	s_waitcnt vmcnt(2)
	v_add_co_u32_e32 v19, vcc, 1, v4
	v_addc_co_u32_e32 v24, vcc, 0, v5, vcc
	v_add_co_u32_e32 v16, vcc, s12, v19
	v_addc_co_u32_e32 v17, vcc, v24, v2, vcc
	v_cmp_eq_u64_e32 vcc, 0, v[16:17]
	v_cndmask_b32_e32 v17, v17, v24, vcc
	v_cndmask_b32_e32 v16, v16, v19, vcc
	v_and_b32_e32 v2, v17, v5
	v_and_b32_e32 v4, v16, v4
	v_mul_lo_u32 v2, v2, 24
	v_mul_hi_u32 v5, v4, 24
	v_mul_lo_u32 v4, v4, 24
	v_add_u32_e32 v2, v5, v2
	s_waitcnt vmcnt(0)
	v_add_co_u32_e32 v4, vcc, v22, v4
	v_addc_co_u32_e32 v5, vcc, v23, v2, vcc
	v_mov_b32_e32 v18, v20
	global_store_dwordx2 v[4:5], v[20:21], off
	v_mov_b32_e32 v19, v21
	buffer_wbl2
	s_waitcnt vmcnt(0)
	global_atomic_cmpswap_x2 v[18:19], v3, v[16:19], s[2:3] offset:24 glc
	s_waitcnt vmcnt(0)
	v_cmp_ne_u64_e32 vcc, v[18:19], v[20:21]
	s_and_b64 exec, exec, vcc
	s_cbranch_execz .LBB0_30
; %bb.28:                               ;   in Loop: Header=BB0_4 Depth=1
	s_mov_b64 s[0:1], 0
.LBB0_29:                               ;   Parent Loop BB0_4 Depth=1
                                        ; =>  This Inner Loop Header: Depth=2
	s_sleep 1
	global_store_dwordx2 v[4:5], v[18:19], off
	buffer_wbl2
	s_waitcnt vmcnt(0)
	global_atomic_cmpswap_x2 v[20:21], v3, v[16:19], s[2:3] offset:24 glc
	s_waitcnt vmcnt(0)
	v_cmp_eq_u64_e32 vcc, v[20:21], v[18:19]
	s_or_b64 s[0:1], vcc, s[0:1]
	v_pk_mov_b32 v[18:19], v[20:21], v[20:21] op_sel:[0,1]
	s_andn2_b64 exec, exec, s[0:1]
	s_cbranch_execnz .LBB0_29
.LBB0_30:                               ;   in Loop: Header=BB0_4 Depth=1
	s_or_b64 exec, exec, s[14:15]
	s_and_b64 vcc, exec, s[4:5]
	s_cbranch_vccz .LBB0_200
; %bb.31:                               ;   in Loop: Header=BB0_4 Depth=1
	s_waitcnt vmcnt(0)
	v_and_b32_e32 v36, 2, v0
	v_and_b32_e32 v16, -3, v0
	v_mov_b32_e32 v17, v1
	s_mov_b64 s[14:15], 3
	s_getpc_b64 s[12:13]
	s_add_u32 s12, s12, .str@rel32@lo+4
	s_addc_u32 s13, s13, .str@rel32@hi+12
	s_branch .LBB0_33
.LBB0_32:                               ;   in Loop: Header=BB0_33 Depth=2
	s_or_b64 exec, exec, s[20:21]
	s_sub_u32 s14, s14, s16
	s_subb_u32 s15, s15, s17
	s_add_u32 s12, s12, s16
	s_addc_u32 s13, s13, s17
	s_cmp_lg_u64 s[14:15], 0
	s_cbranch_scc0 .LBB0_114
.LBB0_33:                               ;   Parent Loop BB0_4 Depth=1
                                        ; =>  This Loop Header: Depth=2
                                        ;       Child Loop BB0_36 Depth 3
                                        ;       Child Loop BB0_43 Depth 3
	;; [unrolled: 1-line block ×11, first 2 shown]
	v_cmp_lt_u64_e64 s[0:1], s[14:15], 56
	s_and_b64 s[0:1], s[0:1], exec
	v_cmp_gt_u64_e64 s[0:1], s[14:15], 7
	s_cselect_b32 s17, s15, 0
	s_cselect_b32 s16, s14, 56
	s_and_b64 vcc, exec, s[0:1]
	s_cbranch_vccnz .LBB0_38
; %bb.34:                               ;   in Loop: Header=BB0_33 Depth=2
	s_mov_b64 s[0:1], 0
	s_cmp_eq_u64 s[14:15], 0
	s_waitcnt vmcnt(0)
	v_pk_mov_b32 v[18:19], 0, 0
	s_cbranch_scc1 .LBB0_37
; %bb.35:                               ;   in Loop: Header=BB0_33 Depth=2
	s_lshl_b64 s[18:19], s[16:17], 3
	s_mov_b64 s[20:21], 0
	v_pk_mov_b32 v[18:19], 0, 0
	s_mov_b64 s[22:23], s[12:13]
.LBB0_36:                               ;   Parent Loop BB0_4 Depth=1
                                        ;     Parent Loop BB0_33 Depth=2
                                        ; =>    This Inner Loop Header: Depth=3
	global_load_ubyte v2, v3, s[22:23]
	s_waitcnt vmcnt(0)
	v_and_b32_e32 v2, 0xffff, v2
	v_lshlrev_b64 v[4:5], s20, v[2:3]
	s_add_u32 s20, s20, 8
	s_addc_u32 s21, s21, 0
	s_add_u32 s22, s22, 1
	s_addc_u32 s23, s23, 0
	v_or_b32_e32 v18, v4, v18
	s_cmp_lg_u32 s18, s20
	v_or_b32_e32 v19, v5, v19
	s_cbranch_scc1 .LBB0_36
.LBB0_37:                               ;   in Loop: Header=BB0_33 Depth=2
	s_mov_b32 s22, 0
	s_andn2_b64 vcc, exec, s[0:1]
	s_mov_b64 s[0:1], s[12:13]
	s_cbranch_vccz .LBB0_39
	s_branch .LBB0_40
.LBB0_38:                               ;   in Loop: Header=BB0_33 Depth=2
                                        ; implicit-def: $vgpr18_vgpr19
                                        ; implicit-def: $sgpr22
	s_mov_b64 s[0:1], s[12:13]
.LBB0_39:                               ;   in Loop: Header=BB0_33 Depth=2
	global_load_dwordx2 v[18:19], v3, s[12:13]
	s_add_i32 s22, s16, -8
	s_add_u32 s0, s12, 8
	s_addc_u32 s1, s13, 0
.LBB0_40:                               ;   in Loop: Header=BB0_33 Depth=2
	s_cmp_gt_u32 s22, 7
	s_cbranch_scc1 .LBB0_44
; %bb.41:                               ;   in Loop: Header=BB0_33 Depth=2
	s_cmp_eq_u32 s22, 0
	s_cbranch_scc1 .LBB0_45
; %bb.42:                               ;   in Loop: Header=BB0_33 Depth=2
	s_mov_b64 s[18:19], 0
	v_pk_mov_b32 v[20:21], 0, 0
	s_mov_b64 s[20:21], 0
.LBB0_43:                               ;   Parent Loop BB0_4 Depth=1
                                        ;     Parent Loop BB0_33 Depth=2
                                        ; =>    This Inner Loop Header: Depth=3
	s_add_u32 s24, s0, s20
	s_addc_u32 s25, s1, s21
	global_load_ubyte v2, v3, s[24:25]
	s_add_u32 s20, s20, 1
	s_addc_u32 s21, s21, 0
	s_waitcnt vmcnt(0)
	v_and_b32_e32 v2, 0xffff, v2
	v_lshlrev_b64 v[4:5], s18, v[2:3]
	s_add_u32 s18, s18, 8
	s_addc_u32 s19, s19, 0
	v_or_b32_e32 v20, v4, v20
	s_cmp_lg_u32 s22, s20
	v_or_b32_e32 v21, v5, v21
	s_cbranch_scc1 .LBB0_43
	s_branch .LBB0_46
.LBB0_44:                               ;   in Loop: Header=BB0_33 Depth=2
                                        ; implicit-def: $vgpr20_vgpr21
                                        ; implicit-def: $sgpr23
	s_branch .LBB0_47
.LBB0_45:                               ;   in Loop: Header=BB0_33 Depth=2
	v_pk_mov_b32 v[20:21], 0, 0
.LBB0_46:                               ;   in Loop: Header=BB0_33 Depth=2
	s_mov_b32 s23, 0
	s_cbranch_execnz .LBB0_48
.LBB0_47:                               ;   in Loop: Header=BB0_33 Depth=2
	global_load_dwordx2 v[20:21], v3, s[0:1]
	s_add_i32 s23, s22, -8
	s_add_u32 s0, s0, 8
	s_addc_u32 s1, s1, 0
.LBB0_48:                               ;   in Loop: Header=BB0_33 Depth=2
	s_cmp_gt_u32 s23, 7
	s_cbranch_scc1 .LBB0_52
; %bb.49:                               ;   in Loop: Header=BB0_33 Depth=2
	s_cmp_eq_u32 s23, 0
	s_cbranch_scc1 .LBB0_53
; %bb.50:                               ;   in Loop: Header=BB0_33 Depth=2
	s_mov_b64 s[18:19], 0
	v_pk_mov_b32 v[22:23], 0, 0
	s_mov_b64 s[20:21], 0
.LBB0_51:                               ;   Parent Loop BB0_4 Depth=1
                                        ;     Parent Loop BB0_33 Depth=2
                                        ; =>    This Inner Loop Header: Depth=3
	s_add_u32 s24, s0, s20
	s_addc_u32 s25, s1, s21
	global_load_ubyte v2, v3, s[24:25]
	s_add_u32 s20, s20, 1
	s_addc_u32 s21, s21, 0
	s_waitcnt vmcnt(0)
	v_and_b32_e32 v2, 0xffff, v2
	v_lshlrev_b64 v[4:5], s18, v[2:3]
	s_add_u32 s18, s18, 8
	s_addc_u32 s19, s19, 0
	v_or_b32_e32 v22, v4, v22
	s_cmp_lg_u32 s23, s20
	v_or_b32_e32 v23, v5, v23
	s_cbranch_scc1 .LBB0_51
	s_branch .LBB0_54
.LBB0_52:                               ;   in Loop: Header=BB0_33 Depth=2
                                        ; implicit-def: $sgpr22
	s_branch .LBB0_55
.LBB0_53:                               ;   in Loop: Header=BB0_33 Depth=2
	v_pk_mov_b32 v[22:23], 0, 0
.LBB0_54:                               ;   in Loop: Header=BB0_33 Depth=2
	s_mov_b32 s22, 0
	s_cbranch_execnz .LBB0_56
.LBB0_55:                               ;   in Loop: Header=BB0_33 Depth=2
	global_load_dwordx2 v[22:23], v3, s[0:1]
	s_add_i32 s22, s23, -8
	s_add_u32 s0, s0, 8
	s_addc_u32 s1, s1, 0
.LBB0_56:                               ;   in Loop: Header=BB0_33 Depth=2
	s_cmp_gt_u32 s22, 7
	s_cbranch_scc1 .LBB0_60
; %bb.57:                               ;   in Loop: Header=BB0_33 Depth=2
	s_cmp_eq_u32 s22, 0
	s_cbranch_scc1 .LBB0_61
; %bb.58:                               ;   in Loop: Header=BB0_33 Depth=2
	s_mov_b64 s[18:19], 0
	v_pk_mov_b32 v[24:25], 0, 0
	s_mov_b64 s[20:21], 0
.LBB0_59:                               ;   Parent Loop BB0_4 Depth=1
                                        ;     Parent Loop BB0_33 Depth=2
                                        ; =>    This Inner Loop Header: Depth=3
	s_add_u32 s24, s0, s20
	s_addc_u32 s25, s1, s21
	global_load_ubyte v2, v3, s[24:25]
	s_add_u32 s20, s20, 1
	s_addc_u32 s21, s21, 0
	s_waitcnt vmcnt(0)
	v_and_b32_e32 v2, 0xffff, v2
	v_lshlrev_b64 v[4:5], s18, v[2:3]
	s_add_u32 s18, s18, 8
	s_addc_u32 s19, s19, 0
	v_or_b32_e32 v24, v4, v24
	s_cmp_lg_u32 s22, s20
	v_or_b32_e32 v25, v5, v25
	s_cbranch_scc1 .LBB0_59
	s_branch .LBB0_62
.LBB0_60:                               ;   in Loop: Header=BB0_33 Depth=2
                                        ; implicit-def: $vgpr24_vgpr25
                                        ; implicit-def: $sgpr23
	s_branch .LBB0_63
.LBB0_61:                               ;   in Loop: Header=BB0_33 Depth=2
	v_pk_mov_b32 v[24:25], 0, 0
.LBB0_62:                               ;   in Loop: Header=BB0_33 Depth=2
	s_mov_b32 s23, 0
	s_cbranch_execnz .LBB0_64
.LBB0_63:                               ;   in Loop: Header=BB0_33 Depth=2
	global_load_dwordx2 v[24:25], v3, s[0:1]
	s_add_i32 s23, s22, -8
	s_add_u32 s0, s0, 8
	s_addc_u32 s1, s1, 0
.LBB0_64:                               ;   in Loop: Header=BB0_33 Depth=2
	s_cmp_gt_u32 s23, 7
	s_cbranch_scc1 .LBB0_68
; %bb.65:                               ;   in Loop: Header=BB0_33 Depth=2
	s_cmp_eq_u32 s23, 0
	s_cbranch_scc1 .LBB0_69
; %bb.66:                               ;   in Loop: Header=BB0_33 Depth=2
	s_mov_b64 s[18:19], 0
	v_pk_mov_b32 v[26:27], 0, 0
	s_mov_b64 s[20:21], 0
.LBB0_67:                               ;   Parent Loop BB0_4 Depth=1
                                        ;     Parent Loop BB0_33 Depth=2
                                        ; =>    This Inner Loop Header: Depth=3
	s_add_u32 s24, s0, s20
	s_addc_u32 s25, s1, s21
	global_load_ubyte v2, v3, s[24:25]
	s_add_u32 s20, s20, 1
	s_addc_u32 s21, s21, 0
	s_waitcnt vmcnt(0)
	v_and_b32_e32 v2, 0xffff, v2
	v_lshlrev_b64 v[4:5], s18, v[2:3]
	s_add_u32 s18, s18, 8
	s_addc_u32 s19, s19, 0
	v_or_b32_e32 v26, v4, v26
	s_cmp_lg_u32 s23, s20
	v_or_b32_e32 v27, v5, v27
	s_cbranch_scc1 .LBB0_67
	s_branch .LBB0_70
.LBB0_68:                               ;   in Loop: Header=BB0_33 Depth=2
                                        ; implicit-def: $sgpr22
	s_branch .LBB0_71
.LBB0_69:                               ;   in Loop: Header=BB0_33 Depth=2
	v_pk_mov_b32 v[26:27], 0, 0
.LBB0_70:                               ;   in Loop: Header=BB0_33 Depth=2
	s_mov_b32 s22, 0
	s_cbranch_execnz .LBB0_72
.LBB0_71:                               ;   in Loop: Header=BB0_33 Depth=2
	global_load_dwordx2 v[26:27], v3, s[0:1]
	s_add_i32 s22, s23, -8
	s_add_u32 s0, s0, 8
	s_addc_u32 s1, s1, 0
.LBB0_72:                               ;   in Loop: Header=BB0_33 Depth=2
	s_cmp_gt_u32 s22, 7
	s_cbranch_scc1 .LBB0_76
; %bb.73:                               ;   in Loop: Header=BB0_33 Depth=2
	s_cmp_eq_u32 s22, 0
	s_cbranch_scc1 .LBB0_77
; %bb.74:                               ;   in Loop: Header=BB0_33 Depth=2
	s_mov_b64 s[18:19], 0
	v_pk_mov_b32 v[28:29], 0, 0
	s_mov_b64 s[20:21], 0
.LBB0_75:                               ;   Parent Loop BB0_4 Depth=1
                                        ;     Parent Loop BB0_33 Depth=2
                                        ; =>    This Inner Loop Header: Depth=3
	s_add_u32 s24, s0, s20
	s_addc_u32 s25, s1, s21
	global_load_ubyte v2, v3, s[24:25]
	s_add_u32 s20, s20, 1
	s_addc_u32 s21, s21, 0
	s_waitcnt vmcnt(0)
	v_and_b32_e32 v2, 0xffff, v2
	v_lshlrev_b64 v[4:5], s18, v[2:3]
	s_add_u32 s18, s18, 8
	s_addc_u32 s19, s19, 0
	v_or_b32_e32 v28, v4, v28
	s_cmp_lg_u32 s22, s20
	v_or_b32_e32 v29, v5, v29
	s_cbranch_scc1 .LBB0_75
	s_branch .LBB0_78
.LBB0_76:                               ;   in Loop: Header=BB0_33 Depth=2
                                        ; implicit-def: $vgpr28_vgpr29
                                        ; implicit-def: $sgpr23
	s_branch .LBB0_79
.LBB0_77:                               ;   in Loop: Header=BB0_33 Depth=2
	v_pk_mov_b32 v[28:29], 0, 0
.LBB0_78:                               ;   in Loop: Header=BB0_33 Depth=2
	s_mov_b32 s23, 0
	s_cbranch_execnz .LBB0_80
.LBB0_79:                               ;   in Loop: Header=BB0_33 Depth=2
	global_load_dwordx2 v[28:29], v3, s[0:1]
	s_add_i32 s23, s22, -8
	s_add_u32 s0, s0, 8
	s_addc_u32 s1, s1, 0
.LBB0_80:                               ;   in Loop: Header=BB0_33 Depth=2
	s_cmp_gt_u32 s23, 7
	s_cbranch_scc1 .LBB0_84
; %bb.81:                               ;   in Loop: Header=BB0_33 Depth=2
	s_cmp_eq_u32 s23, 0
	s_cbranch_scc1 .LBB0_85
; %bb.82:                               ;   in Loop: Header=BB0_33 Depth=2
	s_mov_b64 s[18:19], 0
	v_pk_mov_b32 v[30:31], 0, 0
	s_mov_b64 s[20:21], s[0:1]
.LBB0_83:                               ;   Parent Loop BB0_4 Depth=1
                                        ;     Parent Loop BB0_33 Depth=2
                                        ; =>    This Inner Loop Header: Depth=3
	global_load_ubyte v2, v3, s[20:21]
	s_add_i32 s23, s23, -1
	s_waitcnt vmcnt(0)
	v_and_b32_e32 v2, 0xffff, v2
	v_lshlrev_b64 v[4:5], s18, v[2:3]
	s_add_u32 s18, s18, 8
	s_addc_u32 s19, s19, 0
	s_add_u32 s20, s20, 1
	s_addc_u32 s21, s21, 0
	v_or_b32_e32 v30, v4, v30
	s_cmp_lg_u32 s23, 0
	v_or_b32_e32 v31, v5, v31
	s_cbranch_scc1 .LBB0_83
	s_branch .LBB0_86
.LBB0_84:                               ;   in Loop: Header=BB0_33 Depth=2
	s_branch .LBB0_87
.LBB0_85:                               ;   in Loop: Header=BB0_33 Depth=2
	v_pk_mov_b32 v[30:31], 0, 0
.LBB0_86:                               ;   in Loop: Header=BB0_33 Depth=2
	s_cbranch_execnz .LBB0_88
.LBB0_87:                               ;   in Loop: Header=BB0_33 Depth=2
	global_load_dwordx2 v[30:31], v3, s[0:1]
.LBB0_88:                               ;   in Loop: Header=BB0_33 Depth=2
	v_readfirstlane_b32 s0, v38
	v_cmp_eq_u32_e64 s[0:1], s0, v38
	v_pk_mov_b32 v[4:5], 0, 0
	s_and_saveexec_b64 s[18:19], s[0:1]
	s_cbranch_execz .LBB0_94
; %bb.89:                               ;   in Loop: Header=BB0_33 Depth=2
	global_load_dwordx2 v[34:35], v3, s[2:3] offset:24 glc
	s_waitcnt vmcnt(0)
	buffer_invl2
	buffer_wbinvl1_vol
	global_load_dwordx2 v[4:5], v3, s[2:3] offset:40
	global_load_dwordx2 v[32:33], v3, s[2:3]
	s_waitcnt vmcnt(1)
	v_and_b32_e32 v2, v4, v34
	v_and_b32_e32 v4, v5, v35
	v_mul_lo_u32 v4, v4, 24
	v_mul_hi_u32 v5, v2, 24
	v_mul_lo_u32 v2, v2, 24
	v_add_u32_e32 v5, v5, v4
	s_waitcnt vmcnt(0)
	v_add_co_u32_e32 v4, vcc, v32, v2
	v_addc_co_u32_e32 v5, vcc, v33, v5, vcc
	global_load_dwordx2 v[32:33], v[4:5], off glc
	s_waitcnt vmcnt(0)
	global_atomic_cmpswap_x2 v[4:5], v3, v[32:35], s[2:3] offset:24 glc
	s_waitcnt vmcnt(0)
	buffer_invl2
	buffer_wbinvl1_vol
	v_cmp_ne_u64_e32 vcc, v[4:5], v[34:35]
	s_and_saveexec_b64 s[20:21], vcc
	s_cbranch_execz .LBB0_93
; %bb.90:                               ;   in Loop: Header=BB0_33 Depth=2
	s_mov_b64 s[22:23], 0
.LBB0_91:                               ;   Parent Loop BB0_4 Depth=1
                                        ;     Parent Loop BB0_33 Depth=2
                                        ; =>    This Inner Loop Header: Depth=3
	s_sleep 1
	global_load_dwordx2 v[32:33], v3, s[2:3] offset:40
	global_load_dwordx2 v[40:41], v3, s[2:3]
	v_pk_mov_b32 v[34:35], v[4:5], v[4:5] op_sel:[0,1]
	s_waitcnt vmcnt(1)
	v_and_b32_e32 v2, v32, v34
	s_waitcnt vmcnt(0)
	v_mad_u64_u32 v[4:5], s[24:25], v2, 24, v[40:41]
	v_and_b32_e32 v33, v33, v35
	v_mov_b32_e32 v2, v5
	v_mad_u64_u32 v[32:33], s[24:25], v33, 24, v[2:3]
	v_mov_b32_e32 v5, v32
	global_load_dwordx2 v[32:33], v[4:5], off glc
	s_waitcnt vmcnt(0)
	global_atomic_cmpswap_x2 v[4:5], v3, v[32:35], s[2:3] offset:24 glc
	s_waitcnt vmcnt(0)
	buffer_invl2
	buffer_wbinvl1_vol
	v_cmp_eq_u64_e32 vcc, v[4:5], v[34:35]
	s_or_b64 s[22:23], vcc, s[22:23]
	s_andn2_b64 exec, exec, s[22:23]
	s_cbranch_execnz .LBB0_91
; %bb.92:                               ;   in Loop: Header=BB0_33 Depth=2
	s_or_b64 exec, exec, s[22:23]
.LBB0_93:                               ;   in Loop: Header=BB0_33 Depth=2
	s_or_b64 exec, exec, s[20:21]
.LBB0_94:                               ;   in Loop: Header=BB0_33 Depth=2
	s_or_b64 exec, exec, s[18:19]
	global_load_dwordx2 v[40:41], v3, s[2:3] offset:40
	global_load_dwordx4 v[32:35], v3, s[2:3]
	v_readfirstlane_b32 s18, v4
	v_readfirstlane_b32 s19, v5
	s_mov_b64 s[20:21], exec
	s_waitcnt vmcnt(1)
	v_readfirstlane_b32 s22, v40
	v_readfirstlane_b32 s23, v41
	s_and_b64 s[22:23], s[18:19], s[22:23]
	s_mul_i32 s24, s23, 24
	s_mul_hi_u32 s25, s22, 24
	s_mul_i32 s30, s22, 24
	s_add_i32 s24, s25, s24
	v_mov_b32_e32 v2, s24
	s_waitcnt vmcnt(0)
	v_add_co_u32_e32 v40, vcc, s30, v32
	v_addc_co_u32_e32 v41, vcc, v33, v2, vcc
	s_and_saveexec_b64 s[24:25], s[0:1]
	s_cbranch_execz .LBB0_96
; %bb.95:                               ;   in Loop: Header=BB0_33 Depth=2
	v_pk_mov_b32 v[4:5], s[20:21], s[20:21] op_sel:[0,1]
	global_store_dwordx4 v[40:41], v[4:7], off offset:8
.LBB0_96:                               ;   in Loop: Header=BB0_33 Depth=2
	s_or_b64 exec, exec, s[24:25]
	s_lshl_b64 s[20:21], s[22:23], 12
	v_mov_b32_e32 v2, s21
	v_add_co_u32_e32 v4, vcc, s20, v34
	v_addc_co_u32_e32 v5, vcc, v35, v2, vcc
	v_or_b32_e32 v2, 0, v17
	v_or_b32_e32 v34, v16, v36
	v_cmp_gt_u64_e64 vcc, s[14:15], 56
	s_lshl_b32 s20, s16, 2
	v_cndmask_b32_e32 v17, v2, v17, vcc
	v_cndmask_b32_e32 v2, v34, v16, vcc
	s_add_i32 s20, s20, 28
	s_and_b32 s20, s20, 0x1e0
	v_and_b32_e32 v2, 0xffffff1f, v2
	v_or_b32_e32 v16, s20, v2
	v_readfirstlane_b32 s20, v4
	v_readfirstlane_b32 s21, v5
	s_nop 4
	global_store_dwordx4 v39, v[16:19], s[20:21]
	global_store_dwordx4 v39, v[20:23], s[20:21] offset:16
	global_store_dwordx4 v39, v[24:27], s[20:21] offset:32
	;; [unrolled: 1-line block ×3, first 2 shown]
	s_and_saveexec_b64 s[20:21], s[0:1]
	s_cbranch_execz .LBB0_104
; %bb.97:                               ;   in Loop: Header=BB0_33 Depth=2
	global_load_dwordx2 v[24:25], v3, s[2:3] offset:32 glc
	global_load_dwordx2 v[16:17], v3, s[2:3] offset:40
	v_mov_b32_e32 v22, s18
	v_mov_b32_e32 v23, s19
	s_waitcnt vmcnt(0)
	v_readfirstlane_b32 s22, v16
	v_readfirstlane_b32 s23, v17
	s_and_b64 s[22:23], s[22:23], s[18:19]
	s_mul_i32 s23, s23, 24
	s_mul_hi_u32 s24, s22, 24
	s_mul_i32 s22, s22, 24
	s_add_i32 s23, s24, s23
	v_mov_b32_e32 v2, s23
	v_add_co_u32_e32 v20, vcc, s22, v32
	v_addc_co_u32_e32 v21, vcc, v33, v2, vcc
	global_store_dwordx2 v[20:21], v[24:25], off
	buffer_wbl2
	s_waitcnt vmcnt(0)
	global_atomic_cmpswap_x2 v[18:19], v3, v[22:25], s[2:3] offset:32 glc
	s_waitcnt vmcnt(0)
	v_cmp_ne_u64_e32 vcc, v[18:19], v[24:25]
	s_and_saveexec_b64 s[22:23], vcc
	s_cbranch_execz .LBB0_100
; %bb.98:                               ;   in Loop: Header=BB0_33 Depth=2
	s_mov_b64 s[24:25], 0
.LBB0_99:                               ;   Parent Loop BB0_4 Depth=1
                                        ;     Parent Loop BB0_33 Depth=2
                                        ; =>    This Inner Loop Header: Depth=3
	s_sleep 1
	global_store_dwordx2 v[20:21], v[18:19], off
	v_mov_b32_e32 v16, s18
	v_mov_b32_e32 v17, s19
	buffer_wbl2
	s_waitcnt vmcnt(0)
	global_atomic_cmpswap_x2 v[16:17], v3, v[16:19], s[2:3] offset:32 glc
	s_waitcnt vmcnt(0)
	v_cmp_eq_u64_e32 vcc, v[16:17], v[18:19]
	s_or_b64 s[24:25], vcc, s[24:25]
	v_pk_mov_b32 v[18:19], v[16:17], v[16:17] op_sel:[0,1]
	s_andn2_b64 exec, exec, s[24:25]
	s_cbranch_execnz .LBB0_99
.LBB0_100:                              ;   in Loop: Header=BB0_33 Depth=2
	s_or_b64 exec, exec, s[22:23]
	global_load_dwordx2 v[16:17], v3, s[2:3] offset:16
	s_mov_b64 s[24:25], exec
	v_mbcnt_lo_u32_b32 v2, s24, 0
	v_mbcnt_hi_u32_b32 v2, s25, v2
	v_cmp_eq_u32_e32 vcc, 0, v2
	s_and_saveexec_b64 s[22:23], vcc
	s_cbranch_execz .LBB0_102
; %bb.101:                              ;   in Loop: Header=BB0_33 Depth=2
	s_bcnt1_i32_b64 s24, s[24:25]
	v_mov_b32_e32 v2, s24
	buffer_wbl2
	s_waitcnt vmcnt(0)
	global_atomic_add_x2 v[16:17], v[2:3], off offset:8
.LBB0_102:                              ;   in Loop: Header=BB0_33 Depth=2
	s_or_b64 exec, exec, s[22:23]
	s_waitcnt vmcnt(0)
	global_load_dwordx2 v[18:19], v[16:17], off offset:16
	s_waitcnt vmcnt(0)
	v_cmp_eq_u64_e32 vcc, 0, v[18:19]
	s_cbranch_vccnz .LBB0_104
; %bb.103:                              ;   in Loop: Header=BB0_33 Depth=2
	global_load_dword v2, v[16:17], off offset:24
	buffer_wbl2
	s_waitcnt vmcnt(0)
	global_store_dwordx2 v[18:19], v[2:3], off
	v_and_b32_e32 v2, 0xffffff, v2
	v_readfirstlane_b32 m0, v2
	s_sendmsg sendmsg(MSG_INTERRUPT)
.LBB0_104:                              ;   in Loop: Header=BB0_33 Depth=2
	s_or_b64 exec, exec, s[20:21]
	v_add_co_u32_e32 v4, vcc, v4, v39
	v_addc_co_u32_e32 v5, vcc, 0, v5, vcc
	s_branch .LBB0_108
.LBB0_105:                              ;   in Loop: Header=BB0_108 Depth=3
	s_or_b64 exec, exec, s[20:21]
	v_readfirstlane_b32 s20, v2
	s_cmp_eq_u32 s20, 0
	s_cbranch_scc1 .LBB0_107
; %bb.106:                              ;   in Loop: Header=BB0_108 Depth=3
	s_sleep 1
	s_cbranch_execnz .LBB0_108
	s_branch .LBB0_110
.LBB0_107:                              ;   in Loop: Header=BB0_33 Depth=2
	s_branch .LBB0_110
.LBB0_108:                              ;   Parent Loop BB0_4 Depth=1
                                        ;     Parent Loop BB0_33 Depth=2
                                        ; =>    This Inner Loop Header: Depth=3
	v_mov_b32_e32 v2, 1
	s_and_saveexec_b64 s[20:21], s[0:1]
	s_cbranch_execz .LBB0_105
; %bb.109:                              ;   in Loop: Header=BB0_108 Depth=3
	global_load_dword v2, v[40:41], off offset:20 glc
	s_waitcnt vmcnt(0)
	buffer_invl2
	buffer_wbinvl1_vol
	v_and_b32_e32 v2, 1, v2
	s_branch .LBB0_105
.LBB0_110:                              ;   in Loop: Header=BB0_33 Depth=2
	global_load_dwordx4 v[16:19], v[4:5], off
	s_and_saveexec_b64 s[20:21], s[0:1]
	s_cbranch_execz .LBB0_32
; %bb.111:                              ;   in Loop: Header=BB0_33 Depth=2
	global_load_dwordx2 v[4:5], v3, s[2:3] offset:40
	global_load_dwordx2 v[22:23], v3, s[2:3] offset:24 glc
	global_load_dwordx2 v[24:25], v3, s[2:3]
	v_mov_b32_e32 v2, s19
	s_waitcnt vmcnt(2)
	v_add_co_u32_e32 v21, vcc, 1, v4
	v_addc_co_u32_e32 v26, vcc, 0, v5, vcc
	v_add_co_u32_e32 v18, vcc, s18, v21
	v_addc_co_u32_e32 v19, vcc, v26, v2, vcc
	v_cmp_eq_u64_e32 vcc, 0, v[18:19]
	v_cndmask_b32_e32 v19, v19, v26, vcc
	v_cndmask_b32_e32 v18, v18, v21, vcc
	v_and_b32_e32 v2, v19, v5
	v_and_b32_e32 v4, v18, v4
	v_mul_lo_u32 v2, v2, 24
	v_mul_hi_u32 v5, v4, 24
	v_mul_lo_u32 v4, v4, 24
	v_add_u32_e32 v2, v5, v2
	s_waitcnt vmcnt(0)
	v_add_co_u32_e32 v4, vcc, v24, v4
	v_addc_co_u32_e32 v5, vcc, v25, v2, vcc
	v_mov_b32_e32 v20, v22
	global_store_dwordx2 v[4:5], v[22:23], off
	v_mov_b32_e32 v21, v23
	buffer_wbl2
	s_waitcnt vmcnt(0)
	global_atomic_cmpswap_x2 v[20:21], v3, v[18:21], s[2:3] offset:24 glc
	s_waitcnt vmcnt(0)
	v_cmp_ne_u64_e32 vcc, v[20:21], v[22:23]
	s_and_b64 exec, exec, vcc
	s_cbranch_execz .LBB0_32
; %bb.112:                              ;   in Loop: Header=BB0_33 Depth=2
	s_mov_b64 s[0:1], 0
.LBB0_113:                              ;   Parent Loop BB0_4 Depth=1
                                        ;     Parent Loop BB0_33 Depth=2
                                        ; =>    This Inner Loop Header: Depth=3
	s_sleep 1
	global_store_dwordx2 v[4:5], v[20:21], off
	buffer_wbl2
	s_waitcnt vmcnt(0)
	global_atomic_cmpswap_x2 v[22:23], v3, v[18:21], s[2:3] offset:24 glc
	s_waitcnt vmcnt(0)
	v_cmp_eq_u64_e32 vcc, v[22:23], v[20:21]
	s_or_b64 s[0:1], vcc, s[0:1]
	v_pk_mov_b32 v[20:21], v[22:23], v[22:23] op_sel:[0,1]
	s_andn2_b64 exec, exec, s[0:1]
	s_cbranch_execnz .LBB0_113
	s_branch .LBB0_32
.LBB0_114:                              ;   in Loop: Header=BB0_4 Depth=1
.LBB0_115:                              ;   in Loop: Header=BB0_4 Depth=1
	s_and_b64 vcc, exec, s[6:7]
	s_cbranch_vccz .LBB0_228
.LBB0_116:                              ;   in Loop: Header=BB0_4 Depth=1
	s_waitcnt vmcnt(0)
	v_and_b32_e32 v18, -3, v16
	v_mov_b32_e32 v19, v17
	s_mov_b64 s[14:15], 56
	s_getpc_b64 s[12:13]
	s_add_u32 s12, s12, .str.1@rel32@lo+4
	s_addc_u32 s13, s13, .str.1@rel32@hi+12
	s_branch .LBB0_118
.LBB0_117:                              ;   in Loop: Header=BB0_118 Depth=2
	s_or_b64 exec, exec, s[20:21]
	s_sub_u32 s14, s14, s16
	s_subb_u32 s15, s15, s17
	s_add_u32 s12, s12, s16
	s_addc_u32 s13, s13, s17
	s_cmp_lg_u64 s[14:15], 0
	s_cbranch_scc0 .LBB0_199
.LBB0_118:                              ;   Parent Loop BB0_4 Depth=1
                                        ; =>  This Loop Header: Depth=2
                                        ;       Child Loop BB0_121 Depth 3
                                        ;       Child Loop BB0_128 Depth 3
	;; [unrolled: 1-line block ×11, first 2 shown]
	v_cmp_lt_u64_e64 s[0:1], s[14:15], 56
	s_and_b64 s[0:1], s[0:1], exec
	v_cmp_gt_u64_e64 s[0:1], s[14:15], 7
	s_cselect_b32 s17, s15, 0
	s_cselect_b32 s16, s14, 56
	s_and_b64 vcc, exec, s[0:1]
	s_cbranch_vccnz .LBB0_123
; %bb.119:                              ;   in Loop: Header=BB0_118 Depth=2
	s_mov_b64 s[0:1], 0
	s_cmp_eq_u64 s[14:15], 0
	s_waitcnt vmcnt(0)
	v_pk_mov_b32 v[20:21], 0, 0
	s_cbranch_scc1 .LBB0_122
; %bb.120:                              ;   in Loop: Header=BB0_118 Depth=2
	s_lshl_b64 s[18:19], s[16:17], 3
	s_mov_b64 s[20:21], 0
	v_pk_mov_b32 v[20:21], 0, 0
	s_mov_b64 s[22:23], s[12:13]
.LBB0_121:                              ;   Parent Loop BB0_4 Depth=1
                                        ;     Parent Loop BB0_118 Depth=2
                                        ; =>    This Inner Loop Header: Depth=3
	global_load_ubyte v0, v3, s[22:23]
	s_waitcnt vmcnt(0)
	v_and_b32_e32 v2, 0xffff, v0
	v_lshlrev_b64 v[0:1], s20, v[2:3]
	s_add_u32 s20, s20, 8
	s_addc_u32 s21, s21, 0
	s_add_u32 s22, s22, 1
	s_addc_u32 s23, s23, 0
	v_or_b32_e32 v20, v0, v20
	s_cmp_lg_u32 s18, s20
	v_or_b32_e32 v21, v1, v21
	s_cbranch_scc1 .LBB0_121
.LBB0_122:                              ;   in Loop: Header=BB0_118 Depth=2
	s_mov_b32 s22, 0
	s_andn2_b64 vcc, exec, s[0:1]
	s_mov_b64 s[0:1], s[12:13]
	s_cbranch_vccz .LBB0_124
	s_branch .LBB0_125
.LBB0_123:                              ;   in Loop: Header=BB0_118 Depth=2
                                        ; implicit-def: $sgpr22
	s_mov_b64 s[0:1], s[12:13]
.LBB0_124:                              ;   in Loop: Header=BB0_118 Depth=2
	global_load_dwordx2 v[20:21], v3, s[12:13]
	s_add_i32 s22, s16, -8
	s_add_u32 s0, s12, 8
	s_addc_u32 s1, s13, 0
.LBB0_125:                              ;   in Loop: Header=BB0_118 Depth=2
	s_cmp_gt_u32 s22, 7
	s_cbranch_scc1 .LBB0_129
; %bb.126:                              ;   in Loop: Header=BB0_118 Depth=2
	s_cmp_eq_u32 s22, 0
	s_cbranch_scc1 .LBB0_130
; %bb.127:                              ;   in Loop: Header=BB0_118 Depth=2
	s_mov_b64 s[18:19], 0
	v_pk_mov_b32 v[22:23], 0, 0
	s_mov_b64 s[20:21], 0
.LBB0_128:                              ;   Parent Loop BB0_4 Depth=1
                                        ;     Parent Loop BB0_118 Depth=2
                                        ; =>    This Inner Loop Header: Depth=3
	s_add_u32 s24, s0, s20
	s_addc_u32 s25, s1, s21
	global_load_ubyte v0, v3, s[24:25]
	s_add_u32 s20, s20, 1
	s_addc_u32 s21, s21, 0
	s_waitcnt vmcnt(0)
	v_and_b32_e32 v2, 0xffff, v0
	v_lshlrev_b64 v[0:1], s18, v[2:3]
	s_add_u32 s18, s18, 8
	s_addc_u32 s19, s19, 0
	v_or_b32_e32 v22, v0, v22
	s_cmp_lg_u32 s22, s20
	v_or_b32_e32 v23, v1, v23
	s_cbranch_scc1 .LBB0_128
	s_branch .LBB0_131
.LBB0_129:                              ;   in Loop: Header=BB0_118 Depth=2
                                        ; implicit-def: $vgpr22_vgpr23
                                        ; implicit-def: $sgpr23
	s_branch .LBB0_132
.LBB0_130:                              ;   in Loop: Header=BB0_118 Depth=2
	v_pk_mov_b32 v[22:23], 0, 0
.LBB0_131:                              ;   in Loop: Header=BB0_118 Depth=2
	s_mov_b32 s23, 0
	s_cbranch_execnz .LBB0_133
.LBB0_132:                              ;   in Loop: Header=BB0_118 Depth=2
	global_load_dwordx2 v[22:23], v3, s[0:1]
	s_add_i32 s23, s22, -8
	s_add_u32 s0, s0, 8
	s_addc_u32 s1, s1, 0
.LBB0_133:                              ;   in Loop: Header=BB0_118 Depth=2
	s_cmp_gt_u32 s23, 7
	s_cbranch_scc1 .LBB0_137
; %bb.134:                              ;   in Loop: Header=BB0_118 Depth=2
	s_cmp_eq_u32 s23, 0
	s_cbranch_scc1 .LBB0_138
; %bb.135:                              ;   in Loop: Header=BB0_118 Depth=2
	s_mov_b64 s[18:19], 0
	v_pk_mov_b32 v[24:25], 0, 0
	s_mov_b64 s[20:21], 0
.LBB0_136:                              ;   Parent Loop BB0_4 Depth=1
                                        ;     Parent Loop BB0_118 Depth=2
                                        ; =>    This Inner Loop Header: Depth=3
	s_add_u32 s24, s0, s20
	s_addc_u32 s25, s1, s21
	global_load_ubyte v0, v3, s[24:25]
	s_add_u32 s20, s20, 1
	s_addc_u32 s21, s21, 0
	s_waitcnt vmcnt(0)
	v_and_b32_e32 v2, 0xffff, v0
	v_lshlrev_b64 v[0:1], s18, v[2:3]
	s_add_u32 s18, s18, 8
	s_addc_u32 s19, s19, 0
	v_or_b32_e32 v24, v0, v24
	s_cmp_lg_u32 s23, s20
	v_or_b32_e32 v25, v1, v25
	s_cbranch_scc1 .LBB0_136
	s_branch .LBB0_139
.LBB0_137:                              ;   in Loop: Header=BB0_118 Depth=2
                                        ; implicit-def: $sgpr22
	s_branch .LBB0_140
.LBB0_138:                              ;   in Loop: Header=BB0_118 Depth=2
	v_pk_mov_b32 v[24:25], 0, 0
.LBB0_139:                              ;   in Loop: Header=BB0_118 Depth=2
	s_mov_b32 s22, 0
	s_cbranch_execnz .LBB0_141
.LBB0_140:                              ;   in Loop: Header=BB0_118 Depth=2
	global_load_dwordx2 v[24:25], v3, s[0:1]
	s_add_i32 s22, s23, -8
	s_add_u32 s0, s0, 8
	s_addc_u32 s1, s1, 0
.LBB0_141:                              ;   in Loop: Header=BB0_118 Depth=2
	s_cmp_gt_u32 s22, 7
	s_cbranch_scc1 .LBB0_145
; %bb.142:                              ;   in Loop: Header=BB0_118 Depth=2
	s_cmp_eq_u32 s22, 0
	s_cbranch_scc1 .LBB0_146
; %bb.143:                              ;   in Loop: Header=BB0_118 Depth=2
	s_mov_b64 s[18:19], 0
	v_pk_mov_b32 v[26:27], 0, 0
	s_mov_b64 s[20:21], 0
.LBB0_144:                              ;   Parent Loop BB0_4 Depth=1
                                        ;     Parent Loop BB0_118 Depth=2
                                        ; =>    This Inner Loop Header: Depth=3
	s_add_u32 s24, s0, s20
	s_addc_u32 s25, s1, s21
	global_load_ubyte v0, v3, s[24:25]
	s_add_u32 s20, s20, 1
	s_addc_u32 s21, s21, 0
	s_waitcnt vmcnt(0)
	v_and_b32_e32 v2, 0xffff, v0
	v_lshlrev_b64 v[0:1], s18, v[2:3]
	s_add_u32 s18, s18, 8
	s_addc_u32 s19, s19, 0
	v_or_b32_e32 v26, v0, v26
	s_cmp_lg_u32 s22, s20
	v_or_b32_e32 v27, v1, v27
	s_cbranch_scc1 .LBB0_144
	s_branch .LBB0_147
.LBB0_145:                              ;   in Loop: Header=BB0_118 Depth=2
                                        ; implicit-def: $vgpr26_vgpr27
                                        ; implicit-def: $sgpr23
	s_branch .LBB0_148
.LBB0_146:                              ;   in Loop: Header=BB0_118 Depth=2
	v_pk_mov_b32 v[26:27], 0, 0
.LBB0_147:                              ;   in Loop: Header=BB0_118 Depth=2
	s_mov_b32 s23, 0
	s_cbranch_execnz .LBB0_149
.LBB0_148:                              ;   in Loop: Header=BB0_118 Depth=2
	global_load_dwordx2 v[26:27], v3, s[0:1]
	s_add_i32 s23, s22, -8
	s_add_u32 s0, s0, 8
	s_addc_u32 s1, s1, 0
.LBB0_149:                              ;   in Loop: Header=BB0_118 Depth=2
	s_cmp_gt_u32 s23, 7
	s_cbranch_scc1 .LBB0_153
; %bb.150:                              ;   in Loop: Header=BB0_118 Depth=2
	s_cmp_eq_u32 s23, 0
	s_cbranch_scc1 .LBB0_154
; %bb.151:                              ;   in Loop: Header=BB0_118 Depth=2
	s_mov_b64 s[18:19], 0
	v_pk_mov_b32 v[28:29], 0, 0
	s_mov_b64 s[20:21], 0
.LBB0_152:                              ;   Parent Loop BB0_4 Depth=1
                                        ;     Parent Loop BB0_118 Depth=2
                                        ; =>    This Inner Loop Header: Depth=3
	s_add_u32 s24, s0, s20
	s_addc_u32 s25, s1, s21
	global_load_ubyte v0, v3, s[24:25]
	s_add_u32 s20, s20, 1
	s_addc_u32 s21, s21, 0
	s_waitcnt vmcnt(0)
	v_and_b32_e32 v2, 0xffff, v0
	v_lshlrev_b64 v[0:1], s18, v[2:3]
	s_add_u32 s18, s18, 8
	s_addc_u32 s19, s19, 0
	v_or_b32_e32 v28, v0, v28
	s_cmp_lg_u32 s23, s20
	v_or_b32_e32 v29, v1, v29
	s_cbranch_scc1 .LBB0_152
	s_branch .LBB0_155
.LBB0_153:                              ;   in Loop: Header=BB0_118 Depth=2
                                        ; implicit-def: $sgpr22
	s_branch .LBB0_156
.LBB0_154:                              ;   in Loop: Header=BB0_118 Depth=2
	v_pk_mov_b32 v[28:29], 0, 0
.LBB0_155:                              ;   in Loop: Header=BB0_118 Depth=2
	s_mov_b32 s22, 0
	s_cbranch_execnz .LBB0_157
.LBB0_156:                              ;   in Loop: Header=BB0_118 Depth=2
	global_load_dwordx2 v[28:29], v3, s[0:1]
	s_add_i32 s22, s23, -8
	s_add_u32 s0, s0, 8
	s_addc_u32 s1, s1, 0
.LBB0_157:                              ;   in Loop: Header=BB0_118 Depth=2
	s_cmp_gt_u32 s22, 7
	s_cbranch_scc1 .LBB0_161
; %bb.158:                              ;   in Loop: Header=BB0_118 Depth=2
	s_cmp_eq_u32 s22, 0
	s_cbranch_scc1 .LBB0_162
; %bb.159:                              ;   in Loop: Header=BB0_118 Depth=2
	s_mov_b64 s[18:19], 0
	v_pk_mov_b32 v[30:31], 0, 0
	s_mov_b64 s[20:21], 0
.LBB0_160:                              ;   Parent Loop BB0_4 Depth=1
                                        ;     Parent Loop BB0_118 Depth=2
                                        ; =>    This Inner Loop Header: Depth=3
	s_add_u32 s24, s0, s20
	s_addc_u32 s25, s1, s21
	global_load_ubyte v0, v3, s[24:25]
	s_add_u32 s20, s20, 1
	s_addc_u32 s21, s21, 0
	s_waitcnt vmcnt(0)
	v_and_b32_e32 v2, 0xffff, v0
	v_lshlrev_b64 v[0:1], s18, v[2:3]
	s_add_u32 s18, s18, 8
	s_addc_u32 s19, s19, 0
	v_or_b32_e32 v30, v0, v30
	s_cmp_lg_u32 s22, s20
	v_or_b32_e32 v31, v1, v31
	s_cbranch_scc1 .LBB0_160
	s_branch .LBB0_163
.LBB0_161:                              ;   in Loop: Header=BB0_118 Depth=2
                                        ; implicit-def: $vgpr30_vgpr31
                                        ; implicit-def: $sgpr23
	s_branch .LBB0_164
.LBB0_162:                              ;   in Loop: Header=BB0_118 Depth=2
	v_pk_mov_b32 v[30:31], 0, 0
.LBB0_163:                              ;   in Loop: Header=BB0_118 Depth=2
	s_mov_b32 s23, 0
	s_cbranch_execnz .LBB0_165
.LBB0_164:                              ;   in Loop: Header=BB0_118 Depth=2
	global_load_dwordx2 v[30:31], v3, s[0:1]
	s_add_i32 s23, s22, -8
	s_add_u32 s0, s0, 8
	s_addc_u32 s1, s1, 0
.LBB0_165:                              ;   in Loop: Header=BB0_118 Depth=2
	s_cmp_gt_u32 s23, 7
	s_cbranch_scc1 .LBB0_169
; %bb.166:                              ;   in Loop: Header=BB0_118 Depth=2
	s_cmp_eq_u32 s23, 0
	s_cbranch_scc1 .LBB0_170
; %bb.167:                              ;   in Loop: Header=BB0_118 Depth=2
	s_mov_b64 s[18:19], 0
	v_pk_mov_b32 v[32:33], 0, 0
	s_mov_b64 s[20:21], s[0:1]
.LBB0_168:                              ;   Parent Loop BB0_4 Depth=1
                                        ;     Parent Loop BB0_118 Depth=2
                                        ; =>    This Inner Loop Header: Depth=3
	global_load_ubyte v0, v3, s[20:21]
	s_add_i32 s23, s23, -1
	s_waitcnt vmcnt(0)
	v_and_b32_e32 v2, 0xffff, v0
	v_lshlrev_b64 v[0:1], s18, v[2:3]
	s_add_u32 s18, s18, 8
	s_addc_u32 s19, s19, 0
	s_add_u32 s20, s20, 1
	s_addc_u32 s21, s21, 0
	v_or_b32_e32 v32, v0, v32
	s_cmp_lg_u32 s23, 0
	v_or_b32_e32 v33, v1, v33
	s_cbranch_scc1 .LBB0_168
	s_branch .LBB0_171
.LBB0_169:                              ;   in Loop: Header=BB0_118 Depth=2
	s_branch .LBB0_172
.LBB0_170:                              ;   in Loop: Header=BB0_118 Depth=2
	v_pk_mov_b32 v[32:33], 0, 0
.LBB0_171:                              ;   in Loop: Header=BB0_118 Depth=2
	s_cbranch_execnz .LBB0_173
.LBB0_172:                              ;   in Loop: Header=BB0_118 Depth=2
	global_load_dwordx2 v[32:33], v3, s[0:1]
.LBB0_173:                              ;   in Loop: Header=BB0_118 Depth=2
	v_readfirstlane_b32 s0, v38
	v_cmp_eq_u32_e64 s[0:1], s0, v38
	v_pk_mov_b32 v[0:1], 0, 0
	s_and_saveexec_b64 s[18:19], s[0:1]
	s_cbranch_execz .LBB0_179
; %bb.174:                              ;   in Loop: Header=BB0_118 Depth=2
	global_load_dwordx2 v[36:37], v3, s[2:3] offset:24 glc
	s_waitcnt vmcnt(0)
	buffer_invl2
	buffer_wbinvl1_vol
	global_load_dwordx2 v[0:1], v3, s[2:3] offset:40
	global_load_dwordx2 v[4:5], v3, s[2:3]
	s_waitcnt vmcnt(1)
	v_and_b32_e32 v0, v0, v36
	v_and_b32_e32 v1, v1, v37
	v_mul_lo_u32 v1, v1, 24
	v_mul_hi_u32 v2, v0, 24
	v_mul_lo_u32 v0, v0, 24
	v_add_u32_e32 v1, v2, v1
	s_waitcnt vmcnt(0)
	v_add_co_u32_e32 v0, vcc, v4, v0
	v_addc_co_u32_e32 v1, vcc, v5, v1, vcc
	global_load_dwordx2 v[34:35], v[0:1], off glc
	s_waitcnt vmcnt(0)
	global_atomic_cmpswap_x2 v[0:1], v3, v[34:37], s[2:3] offset:24 glc
	s_waitcnt vmcnt(0)
	buffer_invl2
	buffer_wbinvl1_vol
	v_cmp_ne_u64_e32 vcc, v[0:1], v[36:37]
	s_and_saveexec_b64 s[20:21], vcc
	s_cbranch_execz .LBB0_178
; %bb.175:                              ;   in Loop: Header=BB0_118 Depth=2
	s_mov_b64 s[22:23], 0
.LBB0_176:                              ;   Parent Loop BB0_4 Depth=1
                                        ;     Parent Loop BB0_118 Depth=2
                                        ; =>    This Inner Loop Header: Depth=3
	s_sleep 1
	global_load_dwordx2 v[4:5], v3, s[2:3] offset:40
	global_load_dwordx2 v[34:35], v3, s[2:3]
	v_pk_mov_b32 v[36:37], v[0:1], v[0:1] op_sel:[0,1]
	s_waitcnt vmcnt(1)
	v_and_b32_e32 v0, v4, v36
	s_waitcnt vmcnt(0)
	v_mad_u64_u32 v[0:1], s[24:25], v0, 24, v[34:35]
	v_and_b32_e32 v5, v5, v37
	v_mov_b32_e32 v2, v1
	v_mad_u64_u32 v[4:5], s[24:25], v5, 24, v[2:3]
	v_mov_b32_e32 v1, v4
	global_load_dwordx2 v[34:35], v[0:1], off glc
	s_waitcnt vmcnt(0)
	global_atomic_cmpswap_x2 v[0:1], v3, v[34:37], s[2:3] offset:24 glc
	s_waitcnt vmcnt(0)
	buffer_invl2
	buffer_wbinvl1_vol
	v_cmp_eq_u64_e32 vcc, v[0:1], v[36:37]
	s_or_b64 s[22:23], vcc, s[22:23]
	s_andn2_b64 exec, exec, s[22:23]
	s_cbranch_execnz .LBB0_176
; %bb.177:                              ;   in Loop: Header=BB0_118 Depth=2
	s_or_b64 exec, exec, s[22:23]
.LBB0_178:                              ;   in Loop: Header=BB0_118 Depth=2
	s_or_b64 exec, exec, s[20:21]
.LBB0_179:                              ;   in Loop: Header=BB0_118 Depth=2
	s_or_b64 exec, exec, s[18:19]
	global_load_dwordx2 v[4:5], v3, s[2:3] offset:40
	global_load_dwordx4 v[34:37], v3, s[2:3]
	v_readfirstlane_b32 s18, v0
	v_readfirstlane_b32 s19, v1
	s_mov_b64 s[20:21], exec
	s_waitcnt vmcnt(1)
	v_readfirstlane_b32 s22, v4
	v_readfirstlane_b32 s23, v5
	s_and_b64 s[22:23], s[18:19], s[22:23]
	s_mul_i32 s24, s23, 24
	s_mul_hi_u32 s25, s22, 24
	s_mul_i32 s30, s22, 24
	s_add_i32 s24, s25, s24
	v_mov_b32_e32 v1, s24
	s_waitcnt vmcnt(0)
	v_add_co_u32_e32 v0, vcc, s30, v34
	v_addc_co_u32_e32 v1, vcc, v35, v1, vcc
	s_and_saveexec_b64 s[24:25], s[0:1]
	s_cbranch_execz .LBB0_181
; %bb.180:                              ;   in Loop: Header=BB0_118 Depth=2
	v_pk_mov_b32 v[4:5], s[20:21], s[20:21] op_sel:[0,1]
	global_store_dwordx4 v[0:1], v[4:7], off offset:8
.LBB0_181:                              ;   in Loop: Header=BB0_118 Depth=2
	s_or_b64 exec, exec, s[24:25]
	s_lshl_b64 s[20:21], s[22:23], 12
	v_mov_b32_e32 v2, s21
	v_add_co_u32_e32 v4, vcc, s20, v36
	v_addc_co_u32_e32 v5, vcc, v37, v2, vcc
	v_or_b32_e32 v2, 2, v18
	v_cmp_gt_u64_e64 vcc, s[14:15], 56
	s_lshl_b32 s20, s16, 2
	v_cndmask_b32_e32 v2, v2, v18, vcc
	s_add_i32 s20, s20, 28
	s_and_b32 s20, s20, 0x1e0
	v_and_b32_e32 v2, 0xffffff1f, v2
	v_or_b32_e32 v18, s20, v2
	v_readfirstlane_b32 s20, v4
	v_readfirstlane_b32 s21, v5
	s_nop 4
	global_store_dwordx4 v39, v[18:21], s[20:21]
	global_store_dwordx4 v39, v[22:25], s[20:21] offset:16
	global_store_dwordx4 v39, v[26:29], s[20:21] offset:32
	;; [unrolled: 1-line block ×3, first 2 shown]
	s_and_saveexec_b64 s[20:21], s[0:1]
	s_cbranch_execz .LBB0_189
; %bb.182:                              ;   in Loop: Header=BB0_118 Depth=2
	global_load_dwordx2 v[26:27], v3, s[2:3] offset:32 glc
	global_load_dwordx2 v[18:19], v3, s[2:3] offset:40
	v_mov_b32_e32 v24, s18
	v_mov_b32_e32 v25, s19
	s_waitcnt vmcnt(0)
	v_readfirstlane_b32 s22, v18
	v_readfirstlane_b32 s23, v19
	s_and_b64 s[22:23], s[22:23], s[18:19]
	s_mul_i32 s23, s23, 24
	s_mul_hi_u32 s24, s22, 24
	s_mul_i32 s22, s22, 24
	s_add_i32 s23, s24, s23
	v_mov_b32_e32 v2, s23
	v_add_co_u32_e32 v22, vcc, s22, v34
	v_addc_co_u32_e32 v23, vcc, v35, v2, vcc
	global_store_dwordx2 v[22:23], v[26:27], off
	buffer_wbl2
	s_waitcnt vmcnt(0)
	global_atomic_cmpswap_x2 v[20:21], v3, v[24:27], s[2:3] offset:32 glc
	s_waitcnt vmcnt(0)
	v_cmp_ne_u64_e32 vcc, v[20:21], v[26:27]
	s_and_saveexec_b64 s[22:23], vcc
	s_cbranch_execz .LBB0_185
; %bb.183:                              ;   in Loop: Header=BB0_118 Depth=2
	s_mov_b64 s[24:25], 0
.LBB0_184:                              ;   Parent Loop BB0_4 Depth=1
                                        ;     Parent Loop BB0_118 Depth=2
                                        ; =>    This Inner Loop Header: Depth=3
	s_sleep 1
	global_store_dwordx2 v[22:23], v[20:21], off
	v_mov_b32_e32 v18, s18
	v_mov_b32_e32 v19, s19
	buffer_wbl2
	s_waitcnt vmcnt(0)
	global_atomic_cmpswap_x2 v[18:19], v3, v[18:21], s[2:3] offset:32 glc
	s_waitcnt vmcnt(0)
	v_cmp_eq_u64_e32 vcc, v[18:19], v[20:21]
	s_or_b64 s[24:25], vcc, s[24:25]
	v_pk_mov_b32 v[20:21], v[18:19], v[18:19] op_sel:[0,1]
	s_andn2_b64 exec, exec, s[24:25]
	s_cbranch_execnz .LBB0_184
.LBB0_185:                              ;   in Loop: Header=BB0_118 Depth=2
	s_or_b64 exec, exec, s[22:23]
	global_load_dwordx2 v[18:19], v3, s[2:3] offset:16
	s_mov_b64 s[24:25], exec
	v_mbcnt_lo_u32_b32 v2, s24, 0
	v_mbcnt_hi_u32_b32 v2, s25, v2
	v_cmp_eq_u32_e32 vcc, 0, v2
	s_and_saveexec_b64 s[22:23], vcc
	s_cbranch_execz .LBB0_187
; %bb.186:                              ;   in Loop: Header=BB0_118 Depth=2
	s_bcnt1_i32_b64 s24, s[24:25]
	v_mov_b32_e32 v2, s24
	buffer_wbl2
	s_waitcnt vmcnt(0)
	global_atomic_add_x2 v[18:19], v[2:3], off offset:8
.LBB0_187:                              ;   in Loop: Header=BB0_118 Depth=2
	s_or_b64 exec, exec, s[22:23]
	s_waitcnt vmcnt(0)
	global_load_dwordx2 v[20:21], v[18:19], off offset:16
	s_waitcnt vmcnt(0)
	v_cmp_eq_u64_e32 vcc, 0, v[20:21]
	s_cbranch_vccnz .LBB0_189
; %bb.188:                              ;   in Loop: Header=BB0_118 Depth=2
	global_load_dword v2, v[18:19], off offset:24
	buffer_wbl2
	s_waitcnt vmcnt(0)
	global_store_dwordx2 v[20:21], v[2:3], off
	v_and_b32_e32 v2, 0xffffff, v2
	v_readfirstlane_b32 m0, v2
	s_sendmsg sendmsg(MSG_INTERRUPT)
.LBB0_189:                              ;   in Loop: Header=BB0_118 Depth=2
	s_or_b64 exec, exec, s[20:21]
	v_add_co_u32_e32 v4, vcc, v4, v39
	v_addc_co_u32_e32 v5, vcc, 0, v5, vcc
	s_branch .LBB0_193
.LBB0_190:                              ;   in Loop: Header=BB0_193 Depth=3
	s_or_b64 exec, exec, s[20:21]
	v_readfirstlane_b32 s20, v2
	s_cmp_eq_u32 s20, 0
	s_cbranch_scc1 .LBB0_192
; %bb.191:                              ;   in Loop: Header=BB0_193 Depth=3
	s_sleep 1
	s_cbranch_execnz .LBB0_193
	s_branch .LBB0_195
.LBB0_192:                              ;   in Loop: Header=BB0_118 Depth=2
	s_branch .LBB0_195
.LBB0_193:                              ;   Parent Loop BB0_4 Depth=1
                                        ;     Parent Loop BB0_118 Depth=2
                                        ; =>    This Inner Loop Header: Depth=3
	v_mov_b32_e32 v2, 1
	s_and_saveexec_b64 s[20:21], s[0:1]
	s_cbranch_execz .LBB0_190
; %bb.194:                              ;   in Loop: Header=BB0_193 Depth=3
	global_load_dword v2, v[0:1], off offset:20 glc
	s_waitcnt vmcnt(0)
	buffer_invl2
	buffer_wbinvl1_vol
	v_and_b32_e32 v2, 1, v2
	s_branch .LBB0_190
.LBB0_195:                              ;   in Loop: Header=BB0_118 Depth=2
	global_load_dwordx4 v[18:21], v[4:5], off
	s_and_saveexec_b64 s[20:21], s[0:1]
	s_cbranch_execz .LBB0_117
; %bb.196:                              ;   in Loop: Header=BB0_118 Depth=2
	global_load_dwordx2 v[0:1], v3, s[2:3] offset:40
	global_load_dwordx2 v[4:5], v3, s[2:3] offset:24 glc
	global_load_dwordx2 v[24:25], v3, s[2:3]
	v_mov_b32_e32 v2, s19
	s_waitcnt vmcnt(2)
	v_add_co_u32_e32 v23, vcc, 1, v0
	v_addc_co_u32_e32 v26, vcc, 0, v1, vcc
	v_add_co_u32_e32 v20, vcc, s18, v23
	v_addc_co_u32_e32 v21, vcc, v26, v2, vcc
	v_cmp_eq_u64_e32 vcc, 0, v[20:21]
	v_cndmask_b32_e32 v21, v21, v26, vcc
	v_cndmask_b32_e32 v20, v20, v23, vcc
	v_and_b32_e32 v1, v21, v1
	v_and_b32_e32 v0, v20, v0
	v_mul_lo_u32 v1, v1, 24
	v_mul_hi_u32 v2, v0, 24
	v_mul_lo_u32 v0, v0, 24
	v_add_u32_e32 v1, v2, v1
	s_waitcnt vmcnt(0)
	v_add_co_u32_e32 v0, vcc, v24, v0
	v_addc_co_u32_e32 v1, vcc, v25, v1, vcc
	v_mov_b32_e32 v22, v4
	global_store_dwordx2 v[0:1], v[4:5], off
	v_mov_b32_e32 v23, v5
	buffer_wbl2
	s_waitcnt vmcnt(0)
	global_atomic_cmpswap_x2 v[22:23], v3, v[20:23], s[2:3] offset:24 glc
	s_waitcnt vmcnt(0)
	v_cmp_ne_u64_e32 vcc, v[22:23], v[4:5]
	s_and_b64 exec, exec, vcc
	s_cbranch_execz .LBB0_117
; %bb.197:                              ;   in Loop: Header=BB0_118 Depth=2
	s_mov_b64 s[0:1], 0
.LBB0_198:                              ;   Parent Loop BB0_4 Depth=1
                                        ;     Parent Loop BB0_118 Depth=2
                                        ; =>    This Inner Loop Header: Depth=3
	s_sleep 1
	global_store_dwordx2 v[0:1], v[22:23], off
	buffer_wbl2
	s_waitcnt vmcnt(0)
	global_atomic_cmpswap_x2 v[4:5], v3, v[20:23], s[2:3] offset:24 glc
	s_waitcnt vmcnt(0)
	v_cmp_eq_u64_e32 vcc, v[4:5], v[22:23]
	s_or_b64 s[0:1], vcc, s[0:1]
	v_pk_mov_b32 v[22:23], v[4:5], v[4:5] op_sel:[0,1]
	s_andn2_b64 exec, exec, s[0:1]
	s_cbranch_execnz .LBB0_198
	s_branch .LBB0_117
.LBB0_199:                              ;   in Loop: Header=BB0_4 Depth=1
	s_branch .LBB0_3
.LBB0_200:                              ;   in Loop: Header=BB0_4 Depth=1
                                        ; implicit-def: $vgpr16_vgpr17
	s_cbranch_execz .LBB0_115
; %bb.201:                              ;   in Loop: Header=BB0_4 Depth=1
	v_readfirstlane_b32 s0, v38
	v_cmp_eq_u32_e64 s[0:1], s0, v38
	v_pk_mov_b32 v[4:5], 0, 0
	s_and_saveexec_b64 s[12:13], s[0:1]
	s_cbranch_execz .LBB0_207
; %bb.202:                              ;   in Loop: Header=BB0_4 Depth=1
	global_load_dwordx2 v[18:19], v3, s[2:3] offset:24 glc
	s_waitcnt vmcnt(0)
	buffer_invl2
	buffer_wbinvl1_vol
	global_load_dwordx2 v[4:5], v3, s[2:3] offset:40
	global_load_dwordx2 v[16:17], v3, s[2:3]
	s_waitcnt vmcnt(1)
	v_and_b32_e32 v2, v4, v18
	v_and_b32_e32 v4, v5, v19
	v_mul_lo_u32 v4, v4, 24
	v_mul_hi_u32 v5, v2, 24
	v_mul_lo_u32 v2, v2, 24
	v_add_u32_e32 v5, v5, v4
	s_waitcnt vmcnt(0)
	v_add_co_u32_e32 v4, vcc, v16, v2
	v_addc_co_u32_e32 v5, vcc, v17, v5, vcc
	global_load_dwordx2 v[16:17], v[4:5], off glc
	s_waitcnt vmcnt(0)
	global_atomic_cmpswap_x2 v[4:5], v3, v[16:19], s[2:3] offset:24 glc
	s_waitcnt vmcnt(0)
	buffer_invl2
	buffer_wbinvl1_vol
	v_cmp_ne_u64_e32 vcc, v[4:5], v[18:19]
	s_and_saveexec_b64 s[14:15], vcc
	s_cbranch_execz .LBB0_206
; %bb.203:                              ;   in Loop: Header=BB0_4 Depth=1
	s_mov_b64 s[16:17], 0
.LBB0_204:                              ;   Parent Loop BB0_4 Depth=1
                                        ; =>  This Inner Loop Header: Depth=2
	s_sleep 1
	global_load_dwordx2 v[16:17], v3, s[2:3] offset:40
	global_load_dwordx2 v[20:21], v3, s[2:3]
	v_pk_mov_b32 v[18:19], v[4:5], v[4:5] op_sel:[0,1]
	s_waitcnt vmcnt(1)
	v_and_b32_e32 v2, v16, v18
	s_waitcnt vmcnt(0)
	v_mad_u64_u32 v[4:5], s[18:19], v2, 24, v[20:21]
	v_and_b32_e32 v17, v17, v19
	v_mov_b32_e32 v2, v5
	v_mad_u64_u32 v[16:17], s[18:19], v17, 24, v[2:3]
	v_mov_b32_e32 v5, v16
	global_load_dwordx2 v[16:17], v[4:5], off glc
	s_waitcnt vmcnt(0)
	global_atomic_cmpswap_x2 v[4:5], v3, v[16:19], s[2:3] offset:24 glc
	s_waitcnt vmcnt(0)
	buffer_invl2
	buffer_wbinvl1_vol
	v_cmp_eq_u64_e32 vcc, v[4:5], v[18:19]
	s_or_b64 s[16:17], vcc, s[16:17]
	s_andn2_b64 exec, exec, s[16:17]
	s_cbranch_execnz .LBB0_204
; %bb.205:                              ;   in Loop: Header=BB0_4 Depth=1
	s_or_b64 exec, exec, s[16:17]
.LBB0_206:                              ;   in Loop: Header=BB0_4 Depth=1
	s_or_b64 exec, exec, s[14:15]
.LBB0_207:                              ;   in Loop: Header=BB0_4 Depth=1
	s_or_b64 exec, exec, s[12:13]
	global_load_dwordx2 v[20:21], v3, s[2:3] offset:40
	global_load_dwordx4 v[16:19], v3, s[2:3]
	v_readfirstlane_b32 s12, v4
	v_readfirstlane_b32 s13, v5
	s_mov_b64 s[14:15], exec
	s_waitcnt vmcnt(1)
	v_readfirstlane_b32 s16, v20
	v_readfirstlane_b32 s17, v21
	s_and_b64 s[16:17], s[12:13], s[16:17]
	s_mul_i32 s18, s17, 24
	s_mul_hi_u32 s19, s16, 24
	s_mul_i32 s20, s16, 24
	s_add_i32 s18, s19, s18
	v_mov_b32_e32 v2, s18
	s_waitcnt vmcnt(0)
	v_add_co_u32_e32 v20, vcc, s20, v16
	v_addc_co_u32_e32 v21, vcc, v17, v2, vcc
	s_and_saveexec_b64 s[18:19], s[0:1]
	s_cbranch_execz .LBB0_209
; %bb.208:                              ;   in Loop: Header=BB0_4 Depth=1
	v_pk_mov_b32 v[4:5], s[14:15], s[14:15] op_sel:[0,1]
	global_store_dwordx4 v[20:21], v[4:7], off offset:8
.LBB0_209:                              ;   in Loop: Header=BB0_4 Depth=1
	s_or_b64 exec, exec, s[18:19]
	s_lshl_b64 s[14:15], s[16:17], 12
	v_mov_b32_e32 v2, s15
	v_add_co_u32_e32 v4, vcc, s14, v18
	v_addc_co_u32_e32 v5, vcc, v19, v2, vcc
	v_pk_mov_b32 v[24:25], s[10:11], s[10:11] op_sel:[0,1]
	v_and_or_b32 v0, v0, s27, 32
	v_mov_b32_e32 v2, v3
	v_readfirstlane_b32 s14, v4
	v_readfirstlane_b32 s15, v5
	v_pk_mov_b32 v[22:23], s[8:9], s[8:9] op_sel:[0,1]
	s_nop 3
	global_store_dwordx4 v39, v[0:3], s[14:15]
	global_store_dwordx4 v39, v[22:25], s[14:15] offset:16
	global_store_dwordx4 v39, v[22:25], s[14:15] offset:32
	global_store_dwordx4 v39, v[22:25], s[14:15] offset:48
	s_and_saveexec_b64 s[14:15], s[0:1]
	s_cbranch_execz .LBB0_217
; %bb.210:                              ;   in Loop: Header=BB0_4 Depth=1
	global_load_dwordx2 v[24:25], v3, s[2:3] offset:32 glc
	global_load_dwordx2 v[0:1], v3, s[2:3] offset:40
	v_mov_b32_e32 v22, s12
	v_mov_b32_e32 v23, s13
	s_waitcnt vmcnt(0)
	v_readfirstlane_b32 s16, v0
	v_readfirstlane_b32 s17, v1
	s_and_b64 s[16:17], s[16:17], s[12:13]
	s_mul_i32 s17, s17, 24
	s_mul_hi_u32 s18, s16, 24
	s_mul_i32 s16, s16, 24
	s_add_i32 s17, s18, s17
	v_mov_b32_e32 v1, s17
	v_add_co_u32_e32 v0, vcc, s16, v16
	v_addc_co_u32_e32 v1, vcc, v17, v1, vcc
	global_store_dwordx2 v[0:1], v[24:25], off
	buffer_wbl2
	s_waitcnt vmcnt(0)
	global_atomic_cmpswap_x2 v[18:19], v3, v[22:25], s[2:3] offset:32 glc
	s_waitcnt vmcnt(0)
	v_cmp_ne_u64_e32 vcc, v[18:19], v[24:25]
	s_and_saveexec_b64 s[16:17], vcc
	s_cbranch_execz .LBB0_213
; %bb.211:                              ;   in Loop: Header=BB0_4 Depth=1
	s_mov_b64 s[18:19], 0
.LBB0_212:                              ;   Parent Loop BB0_4 Depth=1
                                        ; =>  This Inner Loop Header: Depth=2
	s_sleep 1
	global_store_dwordx2 v[0:1], v[18:19], off
	v_mov_b32_e32 v16, s12
	v_mov_b32_e32 v17, s13
	buffer_wbl2
	s_waitcnt vmcnt(0)
	global_atomic_cmpswap_x2 v[16:17], v3, v[16:19], s[2:3] offset:32 glc
	s_waitcnt vmcnt(0)
	v_cmp_eq_u64_e32 vcc, v[16:17], v[18:19]
	s_or_b64 s[18:19], vcc, s[18:19]
	v_pk_mov_b32 v[18:19], v[16:17], v[16:17] op_sel:[0,1]
	s_andn2_b64 exec, exec, s[18:19]
	s_cbranch_execnz .LBB0_212
.LBB0_213:                              ;   in Loop: Header=BB0_4 Depth=1
	s_or_b64 exec, exec, s[16:17]
	global_load_dwordx2 v[0:1], v3, s[2:3] offset:16
	s_mov_b64 s[18:19], exec
	v_mbcnt_lo_u32_b32 v2, s18, 0
	v_mbcnt_hi_u32_b32 v2, s19, v2
	v_cmp_eq_u32_e32 vcc, 0, v2
	s_and_saveexec_b64 s[16:17], vcc
	s_cbranch_execz .LBB0_215
; %bb.214:                              ;   in Loop: Header=BB0_4 Depth=1
	s_bcnt1_i32_b64 s18, s[18:19]
	v_mov_b32_e32 v2, s18
	buffer_wbl2
	s_waitcnt vmcnt(0)
	global_atomic_add_x2 v[0:1], v[2:3], off offset:8
.LBB0_215:                              ;   in Loop: Header=BB0_4 Depth=1
	s_or_b64 exec, exec, s[16:17]
	s_waitcnt vmcnt(0)
	global_load_dwordx2 v[16:17], v[0:1], off offset:16
	s_waitcnt vmcnt(0)
	v_cmp_eq_u64_e32 vcc, 0, v[16:17]
	s_cbranch_vccnz .LBB0_217
; %bb.216:                              ;   in Loop: Header=BB0_4 Depth=1
	global_load_dword v2, v[0:1], off offset:24
	s_waitcnt vmcnt(0)
	v_and_b32_e32 v0, 0xffffff, v2
	v_readfirstlane_b32 m0, v0
	buffer_wbl2
	global_store_dwordx2 v[16:17], v[2:3], off
	s_sendmsg sendmsg(MSG_INTERRUPT)
.LBB0_217:                              ;   in Loop: Header=BB0_4 Depth=1
	s_or_b64 exec, exec, s[14:15]
	v_add_co_u32_e32 v0, vcc, v4, v39
	v_addc_co_u32_e32 v1, vcc, 0, v5, vcc
	s_branch .LBB0_221
.LBB0_218:                              ;   in Loop: Header=BB0_221 Depth=2
	s_or_b64 exec, exec, s[14:15]
	v_readfirstlane_b32 s14, v2
	s_cmp_eq_u32 s14, 0
	s_cbranch_scc1 .LBB0_220
; %bb.219:                              ;   in Loop: Header=BB0_221 Depth=2
	s_sleep 1
	s_cbranch_execnz .LBB0_221
	s_branch .LBB0_223
.LBB0_220:                              ;   in Loop: Header=BB0_4 Depth=1
	s_branch .LBB0_223
.LBB0_221:                              ;   Parent Loop BB0_4 Depth=1
                                        ; =>  This Inner Loop Header: Depth=2
	v_mov_b32_e32 v2, 1
	s_and_saveexec_b64 s[14:15], s[0:1]
	s_cbranch_execz .LBB0_218
; %bb.222:                              ;   in Loop: Header=BB0_221 Depth=2
	global_load_dword v2, v[20:21], off offset:20 glc
	s_waitcnt vmcnt(0)
	buffer_invl2
	buffer_wbinvl1_vol
	v_and_b32_e32 v2, 1, v2
	s_branch .LBB0_218
.LBB0_223:                              ;   in Loop: Header=BB0_4 Depth=1
	global_load_dwordx2 v[16:17], v[0:1], off
	s_and_saveexec_b64 s[14:15], s[0:1]
	s_cbranch_execz .LBB0_227
; %bb.224:                              ;   in Loop: Header=BB0_4 Depth=1
	global_load_dwordx2 v[0:1], v3, s[2:3] offset:40
	global_load_dwordx2 v[4:5], v3, s[2:3] offset:24 glc
	global_load_dwordx2 v[22:23], v3, s[2:3]
	v_mov_b32_e32 v2, s13
	s_waitcnt vmcnt(2)
	v_add_co_u32_e32 v21, vcc, 1, v0
	v_addc_co_u32_e32 v24, vcc, 0, v1, vcc
	v_add_co_u32_e32 v18, vcc, s12, v21
	v_addc_co_u32_e32 v19, vcc, v24, v2, vcc
	v_cmp_eq_u64_e32 vcc, 0, v[18:19]
	v_cndmask_b32_e32 v19, v19, v24, vcc
	v_cndmask_b32_e32 v18, v18, v21, vcc
	v_and_b32_e32 v1, v19, v1
	v_and_b32_e32 v0, v18, v0
	v_mul_lo_u32 v1, v1, 24
	v_mul_hi_u32 v2, v0, 24
	v_mul_lo_u32 v0, v0, 24
	v_add_u32_e32 v1, v2, v1
	s_waitcnt vmcnt(0)
	v_add_co_u32_e32 v0, vcc, v22, v0
	v_addc_co_u32_e32 v1, vcc, v23, v1, vcc
	v_mov_b32_e32 v20, v4
	global_store_dwordx2 v[0:1], v[4:5], off
	v_mov_b32_e32 v21, v5
	buffer_wbl2
	s_waitcnt vmcnt(0)
	global_atomic_cmpswap_x2 v[20:21], v3, v[18:21], s[2:3] offset:24 glc
	s_waitcnt vmcnt(0)
	v_cmp_ne_u64_e32 vcc, v[20:21], v[4:5]
	s_and_b64 exec, exec, vcc
	s_cbranch_execz .LBB0_227
; %bb.225:                              ;   in Loop: Header=BB0_4 Depth=1
	s_mov_b64 s[0:1], 0
.LBB0_226:                              ;   Parent Loop BB0_4 Depth=1
                                        ; =>  This Inner Loop Header: Depth=2
	s_sleep 1
	global_store_dwordx2 v[0:1], v[20:21], off
	buffer_wbl2
	s_waitcnt vmcnt(0)
	global_atomic_cmpswap_x2 v[4:5], v3, v[18:21], s[2:3] offset:24 glc
	s_waitcnt vmcnt(0)
	v_cmp_eq_u64_e32 vcc, v[4:5], v[20:21]
	s_or_b64 s[0:1], vcc, s[0:1]
	v_pk_mov_b32 v[20:21], v[4:5], v[4:5] op_sel:[0,1]
	s_andn2_b64 exec, exec, s[0:1]
	s_cbranch_execnz .LBB0_226
.LBB0_227:                              ;   in Loop: Header=BB0_4 Depth=1
	s_or_b64 exec, exec, s[14:15]
	s_and_b64 vcc, exec, s[6:7]
	s_cbranch_vccnz .LBB0_116
.LBB0_228:                              ;   in Loop: Header=BB0_4 Depth=1
	s_cbranch_execz .LBB0_3
; %bb.229:                              ;   in Loop: Header=BB0_4 Depth=1
	v_readfirstlane_b32 s0, v38
	v_cmp_eq_u32_e64 s[0:1], s0, v38
	s_waitcnt vmcnt(0)
	v_pk_mov_b32 v[0:1], 0, 0
	s_and_saveexec_b64 s[12:13], s[0:1]
	s_cbranch_execz .LBB0_235
; %bb.230:                              ;   in Loop: Header=BB0_4 Depth=1
	global_load_dwordx2 v[20:21], v3, s[2:3] offset:24 glc
	s_waitcnt vmcnt(0)
	buffer_invl2
	buffer_wbinvl1_vol
	global_load_dwordx2 v[0:1], v3, s[2:3] offset:40
	global_load_dwordx2 v[4:5], v3, s[2:3]
	s_waitcnt vmcnt(1)
	v_and_b32_e32 v0, v0, v20
	v_and_b32_e32 v1, v1, v21
	v_mul_lo_u32 v1, v1, 24
	v_mul_hi_u32 v2, v0, 24
	v_mul_lo_u32 v0, v0, 24
	v_add_u32_e32 v1, v2, v1
	s_waitcnt vmcnt(0)
	v_add_co_u32_e32 v0, vcc, v4, v0
	v_addc_co_u32_e32 v1, vcc, v5, v1, vcc
	global_load_dwordx2 v[18:19], v[0:1], off glc
	s_waitcnt vmcnt(0)
	global_atomic_cmpswap_x2 v[0:1], v3, v[18:21], s[2:3] offset:24 glc
	s_waitcnt vmcnt(0)
	buffer_invl2
	buffer_wbinvl1_vol
	v_cmp_ne_u64_e32 vcc, v[0:1], v[20:21]
	s_and_saveexec_b64 s[14:15], vcc
	s_cbranch_execz .LBB0_234
; %bb.231:                              ;   in Loop: Header=BB0_4 Depth=1
	s_mov_b64 s[16:17], 0
.LBB0_232:                              ;   Parent Loop BB0_4 Depth=1
                                        ; =>  This Inner Loop Header: Depth=2
	s_sleep 1
	global_load_dwordx2 v[4:5], v3, s[2:3] offset:40
	global_load_dwordx2 v[18:19], v3, s[2:3]
	v_pk_mov_b32 v[20:21], v[0:1], v[0:1] op_sel:[0,1]
	s_waitcnt vmcnt(1)
	v_and_b32_e32 v0, v4, v20
	s_waitcnt vmcnt(0)
	v_mad_u64_u32 v[0:1], s[18:19], v0, 24, v[18:19]
	v_and_b32_e32 v5, v5, v21
	v_mov_b32_e32 v2, v1
	v_mad_u64_u32 v[4:5], s[18:19], v5, 24, v[2:3]
	v_mov_b32_e32 v1, v4
	global_load_dwordx2 v[18:19], v[0:1], off glc
	s_waitcnt vmcnt(0)
	global_atomic_cmpswap_x2 v[0:1], v3, v[18:21], s[2:3] offset:24 glc
	s_waitcnt vmcnt(0)
	buffer_invl2
	buffer_wbinvl1_vol
	v_cmp_eq_u64_e32 vcc, v[0:1], v[20:21]
	s_or_b64 s[16:17], vcc, s[16:17]
	s_andn2_b64 exec, exec, s[16:17]
	s_cbranch_execnz .LBB0_232
; %bb.233:                              ;   in Loop: Header=BB0_4 Depth=1
	s_or_b64 exec, exec, s[16:17]
.LBB0_234:                              ;   in Loop: Header=BB0_4 Depth=1
	s_or_b64 exec, exec, s[14:15]
.LBB0_235:                              ;   in Loop: Header=BB0_4 Depth=1
	s_or_b64 exec, exec, s[12:13]
	global_load_dwordx2 v[4:5], v3, s[2:3] offset:40
	global_load_dwordx4 v[20:23], v3, s[2:3]
	v_readfirstlane_b32 s12, v0
	v_readfirstlane_b32 s13, v1
	s_mov_b64 s[14:15], exec
	s_waitcnt vmcnt(1)
	v_readfirstlane_b32 s16, v4
	v_readfirstlane_b32 s17, v5
	s_and_b64 s[16:17], s[12:13], s[16:17]
	s_mul_i32 s18, s17, 24
	s_mul_hi_u32 s19, s16, 24
	s_mul_i32 s20, s16, 24
	s_add_i32 s18, s19, s18
	v_mov_b32_e32 v1, s18
	s_waitcnt vmcnt(0)
	v_add_co_u32_e32 v0, vcc, s20, v20
	v_addc_co_u32_e32 v1, vcc, v21, v1, vcc
	s_and_saveexec_b64 s[18:19], s[0:1]
	s_cbranch_execz .LBB0_237
; %bb.236:                              ;   in Loop: Header=BB0_4 Depth=1
	v_pk_mov_b32 v[4:5], s[14:15], s[14:15] op_sel:[0,1]
	global_store_dwordx4 v[0:1], v[4:7], off offset:8
.LBB0_237:                              ;   in Loop: Header=BB0_4 Depth=1
	s_or_b64 exec, exec, s[18:19]
	s_lshl_b64 s[14:15], s[16:17], 12
	v_mov_b32_e32 v4, s15
	v_add_co_u32_e32 v2, vcc, s14, v22
	v_addc_co_u32_e32 v5, vcc, v23, v4, vcc
	v_and_or_b32 v16, v16, s28, 34
	v_mov_b32_e32 v18, v3
	v_mov_b32_e32 v19, v3
	v_readfirstlane_b32 s14, v2
	v_readfirstlane_b32 s15, v5
	s_nop 4
	global_store_dwordx4 v39, v[16:19], s[14:15]
	s_nop 0
	v_pk_mov_b32 v[18:19], s[10:11], s[10:11] op_sel:[0,1]
	v_pk_mov_b32 v[16:17], s[8:9], s[8:9] op_sel:[0,1]
	global_store_dwordx4 v39, v[16:19], s[14:15] offset:16
	global_store_dwordx4 v39, v[16:19], s[14:15] offset:32
	;; [unrolled: 1-line block ×3, first 2 shown]
	s_and_saveexec_b64 s[14:15], s[0:1]
	s_cbranch_execz .LBB0_245
; %bb.238:                              ;   in Loop: Header=BB0_4 Depth=1
	global_load_dwordx2 v[24:25], v3, s[2:3] offset:32 glc
	global_load_dwordx2 v[4:5], v3, s[2:3] offset:40
	v_mov_b32_e32 v22, s12
	v_mov_b32_e32 v23, s13
	s_waitcnt vmcnt(0)
	v_readfirstlane_b32 s16, v4
	v_readfirstlane_b32 s17, v5
	s_and_b64 s[16:17], s[16:17], s[12:13]
	s_mul_i32 s17, s17, 24
	s_mul_hi_u32 s18, s16, 24
	s_mul_i32 s16, s16, 24
	s_add_i32 s17, s18, s17
	v_mov_b32_e32 v2, s17
	v_add_co_u32_e32 v4, vcc, s16, v20
	v_addc_co_u32_e32 v5, vcc, v21, v2, vcc
	global_store_dwordx2 v[4:5], v[24:25], off
	buffer_wbl2
	s_waitcnt vmcnt(0)
	global_atomic_cmpswap_x2 v[18:19], v3, v[22:25], s[2:3] offset:32 glc
	s_waitcnt vmcnt(0)
	v_cmp_ne_u64_e32 vcc, v[18:19], v[24:25]
	s_and_saveexec_b64 s[16:17], vcc
	s_cbranch_execz .LBB0_241
; %bb.239:                              ;   in Loop: Header=BB0_4 Depth=1
	s_mov_b64 s[18:19], 0
.LBB0_240:                              ;   Parent Loop BB0_4 Depth=1
                                        ; =>  This Inner Loop Header: Depth=2
	s_sleep 1
	global_store_dwordx2 v[4:5], v[18:19], off
	v_mov_b32_e32 v16, s12
	v_mov_b32_e32 v17, s13
	buffer_wbl2
	s_waitcnt vmcnt(0)
	global_atomic_cmpswap_x2 v[16:17], v3, v[16:19], s[2:3] offset:32 glc
	s_waitcnt vmcnt(0)
	v_cmp_eq_u64_e32 vcc, v[16:17], v[18:19]
	s_or_b64 s[18:19], vcc, s[18:19]
	v_pk_mov_b32 v[18:19], v[16:17], v[16:17] op_sel:[0,1]
	s_andn2_b64 exec, exec, s[18:19]
	s_cbranch_execnz .LBB0_240
.LBB0_241:                              ;   in Loop: Header=BB0_4 Depth=1
	s_or_b64 exec, exec, s[16:17]
	global_load_dwordx2 v[4:5], v3, s[2:3] offset:16
	s_mov_b64 s[18:19], exec
	v_mbcnt_lo_u32_b32 v2, s18, 0
	v_mbcnt_hi_u32_b32 v2, s19, v2
	v_cmp_eq_u32_e32 vcc, 0, v2
	s_and_saveexec_b64 s[16:17], vcc
	s_cbranch_execz .LBB0_243
; %bb.242:                              ;   in Loop: Header=BB0_4 Depth=1
	s_bcnt1_i32_b64 s18, s[18:19]
	v_mov_b32_e32 v2, s18
	buffer_wbl2
	s_waitcnt vmcnt(0)
	global_atomic_add_x2 v[4:5], v[2:3], off offset:8
.LBB0_243:                              ;   in Loop: Header=BB0_4 Depth=1
	s_or_b64 exec, exec, s[16:17]
	s_waitcnt vmcnt(0)
	global_load_dwordx2 v[16:17], v[4:5], off offset:16
	s_waitcnt vmcnt(0)
	v_cmp_eq_u64_e32 vcc, 0, v[16:17]
	s_cbranch_vccnz .LBB0_245
; %bb.244:                              ;   in Loop: Header=BB0_4 Depth=1
	global_load_dword v2, v[4:5], off offset:24
	buffer_wbl2
	s_waitcnt vmcnt(0)
	global_store_dwordx2 v[16:17], v[2:3], off
	v_and_b32_e32 v2, 0xffffff, v2
	v_readfirstlane_b32 m0, v2
	s_sendmsg sendmsg(MSG_INTERRUPT)
.LBB0_245:                              ;   in Loop: Header=BB0_4 Depth=1
	s_or_b64 exec, exec, s[14:15]
	s_branch .LBB0_249
.LBB0_246:                              ;   in Loop: Header=BB0_249 Depth=2
	s_or_b64 exec, exec, s[14:15]
	v_readfirstlane_b32 s14, v2
	s_cmp_eq_u32 s14, 0
	s_cbranch_scc1 .LBB0_248
; %bb.247:                              ;   in Loop: Header=BB0_249 Depth=2
	s_sleep 1
	s_cbranch_execnz .LBB0_249
	s_branch .LBB0_251
.LBB0_248:                              ;   in Loop: Header=BB0_4 Depth=1
	s_branch .LBB0_251
.LBB0_249:                              ;   Parent Loop BB0_4 Depth=1
                                        ; =>  This Inner Loop Header: Depth=2
	v_mov_b32_e32 v2, 1
	s_and_saveexec_b64 s[14:15], s[0:1]
	s_cbranch_execz .LBB0_246
; %bb.250:                              ;   in Loop: Header=BB0_249 Depth=2
	global_load_dword v2, v[0:1], off offset:20 glc
	s_waitcnt vmcnt(0)
	buffer_invl2
	buffer_wbinvl1_vol
	v_and_b32_e32 v2, 1, v2
	s_branch .LBB0_246
.LBB0_251:                              ;   in Loop: Header=BB0_4 Depth=1
	s_and_saveexec_b64 s[14:15], s[0:1]
	s_cbranch_execz .LBB0_2
; %bb.252:                              ;   in Loop: Header=BB0_4 Depth=1
	global_load_dwordx2 v[0:1], v3, s[2:3] offset:40
	global_load_dwordx2 v[4:5], v3, s[2:3] offset:24 glc
	global_load_dwordx2 v[20:21], v3, s[2:3]
	v_mov_b32_e32 v2, s13
	s_waitcnt vmcnt(2)
	v_add_co_u32_e32 v19, vcc, 1, v0
	v_addc_co_u32_e32 v22, vcc, 0, v1, vcc
	v_add_co_u32_e32 v16, vcc, s12, v19
	v_addc_co_u32_e32 v17, vcc, v22, v2, vcc
	v_cmp_eq_u64_e32 vcc, 0, v[16:17]
	v_cndmask_b32_e32 v17, v17, v22, vcc
	v_cndmask_b32_e32 v16, v16, v19, vcc
	v_and_b32_e32 v1, v17, v1
	v_and_b32_e32 v0, v16, v0
	v_mul_lo_u32 v1, v1, 24
	v_mul_hi_u32 v2, v0, 24
	v_mul_lo_u32 v0, v0, 24
	v_add_u32_e32 v1, v2, v1
	s_waitcnt vmcnt(0)
	v_add_co_u32_e32 v0, vcc, v20, v0
	v_addc_co_u32_e32 v1, vcc, v21, v1, vcc
	v_mov_b32_e32 v18, v4
	global_store_dwordx2 v[0:1], v[4:5], off
	v_mov_b32_e32 v19, v5
	buffer_wbl2
	s_waitcnt vmcnt(0)
	global_atomic_cmpswap_x2 v[18:19], v3, v[16:19], s[2:3] offset:24 glc
	s_waitcnt vmcnt(0)
	v_cmp_ne_u64_e32 vcc, v[18:19], v[4:5]
	s_and_b64 exec, exec, vcc
	s_cbranch_execz .LBB0_2
; %bb.253:                              ;   in Loop: Header=BB0_4 Depth=1
	s_mov_b64 s[0:1], 0
.LBB0_254:                              ;   Parent Loop BB0_4 Depth=1
                                        ; =>  This Inner Loop Header: Depth=2
	s_sleep 1
	global_store_dwordx2 v[0:1], v[18:19], off
	buffer_wbl2
	s_waitcnt vmcnt(0)
	global_atomic_cmpswap_x2 v[4:5], v3, v[16:19], s[2:3] offset:24 glc
	s_waitcnt vmcnt(0)
	v_cmp_eq_u64_e32 vcc, v[4:5], v[18:19]
	s_or_b64 s[0:1], vcc, s[0:1]
	v_pk_mov_b32 v[18:19], v[4:5], v[4:5] op_sel:[0,1]
	s_andn2_b64 exec, exec, s[0:1]
	s_cbranch_execnz .LBB0_254
	s_branch .LBB0_2
.LBB0_255:
	s_endpgm
	.section	.rodata,"a",@progbits
	.p2align	6, 0x0
	.amdhsa_kernel _ZN19hipPrintfStressTest22kernel_printf_conststrEj
		.amdhsa_group_segment_fixed_size 0
		.amdhsa_private_segment_fixed_size 0
		.amdhsa_kernarg_size 264
		.amdhsa_user_sgpr_count 6
		.amdhsa_user_sgpr_private_segment_buffer 1
		.amdhsa_user_sgpr_dispatch_ptr 0
		.amdhsa_user_sgpr_queue_ptr 0
		.amdhsa_user_sgpr_kernarg_segment_ptr 1
		.amdhsa_user_sgpr_dispatch_id 0
		.amdhsa_user_sgpr_flat_scratch_init 0
		.amdhsa_user_sgpr_kernarg_preload_length 0
		.amdhsa_user_sgpr_kernarg_preload_offset 0
		.amdhsa_user_sgpr_private_segment_size 0
		.amdhsa_uses_dynamic_stack 0
		.amdhsa_system_sgpr_private_segment_wavefront_offset 0
		.amdhsa_system_sgpr_workgroup_id_x 1
		.amdhsa_system_sgpr_workgroup_id_y 0
		.amdhsa_system_sgpr_workgroup_id_z 0
		.amdhsa_system_sgpr_workgroup_info 0
		.amdhsa_system_vgpr_workitem_id 0
		.amdhsa_next_free_vgpr 42
		.amdhsa_next_free_sgpr 31
		.amdhsa_accum_offset 44
		.amdhsa_reserve_vcc 1
		.amdhsa_reserve_flat_scratch 0
		.amdhsa_float_round_mode_32 0
		.amdhsa_float_round_mode_16_64 0
		.amdhsa_float_denorm_mode_32 3
		.amdhsa_float_denorm_mode_16_64 3
		.amdhsa_dx10_clamp 1
		.amdhsa_ieee_mode 1
		.amdhsa_fp16_overflow 0
		.amdhsa_tg_split 0
		.amdhsa_exception_fp_ieee_invalid_op 0
		.amdhsa_exception_fp_denorm_src 0
		.amdhsa_exception_fp_ieee_div_zero 0
		.amdhsa_exception_fp_ieee_overflow 0
		.amdhsa_exception_fp_ieee_underflow 0
		.amdhsa_exception_fp_ieee_inexact 0
		.amdhsa_exception_int_div_zero 0
	.end_amdhsa_kernel
	.text
.Lfunc_end0:
	.size	_ZN19hipPrintfStressTest22kernel_printf_conststrEj, .Lfunc_end0-_ZN19hipPrintfStressTest22kernel_printf_conststrEj
                                        ; -- End function
	.section	.AMDGPU.csdata,"",@progbits
; Kernel info:
; codeLenInByte = 8372
; NumSgprs: 35
; NumVgprs: 42
; NumAgprs: 0
; TotalNumVgprs: 42
; ScratchSize: 0
; MemoryBound: 0
; FloatMode: 240
; IeeeMode: 1
; LDSByteSize: 0 bytes/workgroup (compile time only)
; SGPRBlocks: 4
; VGPRBlocks: 5
; NumSGPRsForWavesPerEU: 35
; NumVGPRsForWavesPerEU: 42
; AccumOffset: 44
; Occupancy: 8
; WaveLimiterHint : 1
; COMPUTE_PGM_RSRC2:SCRATCH_EN: 0
; COMPUTE_PGM_RSRC2:USER_SGPR: 6
; COMPUTE_PGM_RSRC2:TRAP_HANDLER: 0
; COMPUTE_PGM_RSRC2:TGID_X_EN: 1
; COMPUTE_PGM_RSRC2:TGID_Y_EN: 0
; COMPUTE_PGM_RSRC2:TGID_Z_EN: 0
; COMPUTE_PGM_RSRC2:TIDIG_COMP_CNT: 0
; COMPUTE_PGM_RSRC3_GFX90A:ACCUM_OFFSET: 10
; COMPUTE_PGM_RSRC3_GFX90A:TG_SPLIT: 0
	.text
	.protected	_ZN19hipPrintfStressTest32kernel_printf_two_conditionalstrEj ; -- Begin function _ZN19hipPrintfStressTest32kernel_printf_two_conditionalstrEj
	.globl	_ZN19hipPrintfStressTest32kernel_printf_two_conditionalstrEj
	.p2align	8
	.type	_ZN19hipPrintfStressTest32kernel_printf_two_conditionalstrEj,@function
_ZN19hipPrintfStressTest32kernel_printf_two_conditionalstrEj: ; @_ZN19hipPrintfStressTest32kernel_printf_two_conditionalstrEj
; %bb.0:
	s_load_dword s0, s[4:5], 0x14
	s_load_dword s33, s[4:5], 0x0
	s_add_u32 s8, s4, 8
	s_addc_u32 s9, s5, 0
	s_waitcnt lgkmcnt(0)
	s_mul_i32 s6, s6, s0
	v_add_u32_e32 v0, s6, v0
	s_cmp_lg_u32 s33, 0
	v_and_b32_e32 v0, 1, v0
	s_cselect_b64 s[0:1], -1, 0
	v_cmp_eq_u32_e32 vcc, 1, v0
	v_cndmask_b32_e64 v0, 0, 1, s[0:1]
	v_cmp_ne_u32_e64 s[0:1], 1, v0
	s_and_saveexec_b64 s[2:3], vcc
	s_xor_b64 s[10:11], exec, s[2:3]
	s_cbranch_execz .LBB1_256
; %bb.1:
	s_and_b64 vcc, exec, s[0:1]
	s_cbranch_vccnz .LBB1_256
; %bb.2:
	s_load_dwordx2 s[12:13], s[8:9], 0x50
	s_getpc_b64 s[2:3]
	s_add_u32 s2, s2, .str@rel32@lo+4
	s_addc_u32 s3, s3, .str@rel32@hi+12
	s_mov_b32 s4, 0
	s_cmp_lg_u64 s[2:3], 0
	v_mbcnt_lo_u32_b32 v0, -1, 0
	s_cselect_b64 s[14:15], -1, 0
	s_getpc_b64 s[2:3]
	s_add_u32 s2, s2, .str.3@rel32@lo+4
	s_addc_u32 s3, s3, .str.3@rel32@hi+12
	s_mov_b32 s6, s4
	s_mov_b32 s7, s4
	v_mbcnt_hi_u32_b32 v38, -1, v0
	v_mov_b32_e32 v3, 0
	s_cmp_lg_u64 s[2:3], 0
	s_mov_b32 s5, s4
	v_pk_mov_b32 v[14:15], s[6:7], s[6:7] op_sel:[0,1]
	s_cselect_b64 s[16:17], -1, 0
	v_lshlrev_b32_e32 v39, 6, v38
	s_movk_i32 s34, 0xff1f
	s_movk_i32 s35, 0xff1d
	v_mov_b32_e32 v6, 2
	v_mov_b32_e32 v7, 1
	;; [unrolled: 1-line block ×6, first 2 shown]
	v_pk_mov_b32 v[12:13], s[4:5], s[4:5] op_sel:[0,1]
	s_mov_b32 s36, s4
	s_branch .LBB1_5
.LBB1_3:                                ;   in Loop: Header=BB1_5 Depth=1
	s_or_b64 exec, exec, s[20:21]
.LBB1_4:                                ;   in Loop: Header=BB1_5 Depth=1
	s_add_i32 s36, s36, 1
	s_cmp_lg_u32 s36, s33
	s_cbranch_scc0 .LBB1_256
.LBB1_5:                                ; =>This Loop Header: Depth=1
                                        ;     Child Loop BB1_8 Depth 2
                                        ;     Child Loop BB1_16 Depth 2
                                        ;     Child Loop BB1_25 Depth 2
                                        ;     Child Loop BB1_30 Depth 2
                                        ;     Child Loop BB1_205 Depth 2
                                        ;     Child Loop BB1_213 Depth 2
                                        ;     Child Loop BB1_222 Depth 2
                                        ;     Child Loop BB1_227 Depth 2
                                        ;     Child Loop BB1_34 Depth 2
                                        ;       Child Loop BB1_37 Depth 3
                                        ;       Child Loop BB1_44 Depth 3
	;; [unrolled: 1-line block ×11, first 2 shown]
                                        ;     Child Loop BB1_233 Depth 2
                                        ;     Child Loop BB1_241 Depth 2
	;; [unrolled: 1-line block ×5, first 2 shown]
                                        ;       Child Loop BB1_122 Depth 3
                                        ;       Child Loop BB1_129 Depth 3
	;; [unrolled: 1-line block ×11, first 2 shown]
	v_readfirstlane_b32 s2, v38
	v_cmp_eq_u32_e64 s[2:3], s2, v38
	s_waitcnt vmcnt(0)
	v_pk_mov_b32 v[0:1], 0, 0
	s_and_saveexec_b64 s[18:19], s[2:3]
	s_cbranch_execz .LBB1_11
; %bb.6:                                ;   in Loop: Header=BB1_5 Depth=1
	s_waitcnt lgkmcnt(0)
	global_load_dwordx2 v[18:19], v3, s[12:13] offset:24 glc
	s_waitcnt vmcnt(0)
	buffer_invl2
	buffer_wbinvl1_vol
	global_load_dwordx2 v[0:1], v3, s[12:13] offset:40
	global_load_dwordx2 v[4:5], v3, s[12:13]
	s_waitcnt vmcnt(1)
	v_and_b32_e32 v0, v0, v18
	v_and_b32_e32 v1, v1, v19
	v_mul_lo_u32 v1, v1, 24
	v_mul_hi_u32 v2, v0, 24
	v_mul_lo_u32 v0, v0, 24
	v_add_u32_e32 v1, v2, v1
	s_waitcnt vmcnt(0)
	v_add_co_u32_e32 v0, vcc, v4, v0
	v_addc_co_u32_e32 v1, vcc, v5, v1, vcc
	global_load_dwordx2 v[16:17], v[0:1], off glc
	s_waitcnt vmcnt(0)
	global_atomic_cmpswap_x2 v[0:1], v3, v[16:19], s[12:13] offset:24 glc
	s_waitcnt vmcnt(0)
	buffer_invl2
	buffer_wbinvl1_vol
	v_cmp_ne_u64_e32 vcc, v[0:1], v[18:19]
	s_and_saveexec_b64 s[20:21], vcc
	s_cbranch_execz .LBB1_10
; %bb.7:                                ;   in Loop: Header=BB1_5 Depth=1
	s_mov_b64 s[22:23], 0
.LBB1_8:                                ;   Parent Loop BB1_5 Depth=1
                                        ; =>  This Inner Loop Header: Depth=2
	s_sleep 1
	global_load_dwordx2 v[4:5], v3, s[12:13] offset:40
	global_load_dwordx2 v[16:17], v3, s[12:13]
	v_pk_mov_b32 v[18:19], v[0:1], v[0:1] op_sel:[0,1]
	s_waitcnt vmcnt(1)
	v_and_b32_e32 v0, v4, v18
	s_waitcnt vmcnt(0)
	v_mad_u64_u32 v[0:1], s[24:25], v0, 24, v[16:17]
	v_and_b32_e32 v5, v5, v19
	v_mov_b32_e32 v2, v1
	v_mad_u64_u32 v[4:5], s[24:25], v5, 24, v[2:3]
	v_mov_b32_e32 v1, v4
	global_load_dwordx2 v[16:17], v[0:1], off glc
	s_waitcnt vmcnt(0)
	global_atomic_cmpswap_x2 v[0:1], v3, v[16:19], s[12:13] offset:24 glc
	s_waitcnt vmcnt(0)
	buffer_invl2
	buffer_wbinvl1_vol
	v_cmp_eq_u64_e32 vcc, v[0:1], v[18:19]
	s_or_b64 s[22:23], vcc, s[22:23]
	s_andn2_b64 exec, exec, s[22:23]
	s_cbranch_execnz .LBB1_8
; %bb.9:                                ;   in Loop: Header=BB1_5 Depth=1
	s_or_b64 exec, exec, s[22:23]
.LBB1_10:                               ;   in Loop: Header=BB1_5 Depth=1
	s_or_b64 exec, exec, s[20:21]
.LBB1_11:                               ;   in Loop: Header=BB1_5 Depth=1
	s_or_b64 exec, exec, s[18:19]
	s_waitcnt lgkmcnt(0)
	global_load_dwordx2 v[4:5], v3, s[12:13] offset:40
	global_load_dwordx4 v[16:19], v3, s[12:13]
	v_readfirstlane_b32 s18, v0
	v_readfirstlane_b32 s19, v1
	s_mov_b64 s[20:21], exec
	s_waitcnt vmcnt(1)
	v_readfirstlane_b32 s22, v4
	v_readfirstlane_b32 s23, v5
	s_and_b64 s[22:23], s[18:19], s[22:23]
	s_mul_i32 s24, s23, 24
	s_mul_hi_u32 s25, s22, 24
	s_mul_i32 s26, s22, 24
	s_add_i32 s24, s25, s24
	v_mov_b32_e32 v1, s24
	s_waitcnt vmcnt(0)
	v_add_co_u32_e32 v0, vcc, s26, v16
	v_addc_co_u32_e32 v1, vcc, v17, v1, vcc
	s_and_saveexec_b64 s[24:25], s[2:3]
	s_cbranch_execz .LBB1_13
; %bb.12:                               ;   in Loop: Header=BB1_5 Depth=1
	v_pk_mov_b32 v[4:5], s[20:21], s[20:21] op_sel:[0,1]
	global_store_dwordx4 v[0:1], v[4:7], off offset:8
.LBB1_13:                               ;   in Loop: Header=BB1_5 Depth=1
	s_or_b64 exec, exec, s[24:25]
	s_lshl_b64 s[20:21], s[22:23], 12
	v_mov_b32_e32 v2, s21
	v_add_co_u32_e32 v4, vcc, s20, v18
	v_addc_co_u32_e32 v5, vcc, v19, v2, vcc
	v_readfirstlane_b32 s20, v4
	v_readfirstlane_b32 s21, v5
	s_nop 4
	global_store_dwordx4 v39, v[8:11], s[20:21]
	global_store_dwordx4 v39, v[12:15], s[20:21] offset:16
	global_store_dwordx4 v39, v[12:15], s[20:21] offset:32
	;; [unrolled: 1-line block ×3, first 2 shown]
	s_and_saveexec_b64 s[20:21], s[2:3]
	s_cbranch_execz .LBB1_21
; %bb.14:                               ;   in Loop: Header=BB1_5 Depth=1
	global_load_dwordx2 v[24:25], v3, s[12:13] offset:32 glc
	global_load_dwordx2 v[18:19], v3, s[12:13] offset:40
	v_mov_b32_e32 v22, s18
	v_mov_b32_e32 v23, s19
	s_waitcnt vmcnt(0)
	v_readfirstlane_b32 s22, v18
	v_readfirstlane_b32 s23, v19
	s_and_b64 s[22:23], s[22:23], s[18:19]
	s_mul_i32 s23, s23, 24
	s_mul_hi_u32 s24, s22, 24
	s_mul_i32 s22, s22, 24
	s_add_i32 s23, s24, s23
	v_mov_b32_e32 v2, s23
	v_add_co_u32_e32 v20, vcc, s22, v16
	v_addc_co_u32_e32 v21, vcc, v17, v2, vcc
	global_store_dwordx2 v[20:21], v[24:25], off
	buffer_wbl2
	s_waitcnt vmcnt(0)
	global_atomic_cmpswap_x2 v[18:19], v3, v[22:25], s[12:13] offset:32 glc
	s_waitcnt vmcnt(0)
	v_cmp_ne_u64_e32 vcc, v[18:19], v[24:25]
	s_and_saveexec_b64 s[22:23], vcc
	s_cbranch_execz .LBB1_17
; %bb.15:                               ;   in Loop: Header=BB1_5 Depth=1
	s_mov_b64 s[24:25], 0
.LBB1_16:                               ;   Parent Loop BB1_5 Depth=1
                                        ; =>  This Inner Loop Header: Depth=2
	s_sleep 1
	global_store_dwordx2 v[20:21], v[18:19], off
	v_mov_b32_e32 v16, s18
	v_mov_b32_e32 v17, s19
	buffer_wbl2
	s_waitcnt vmcnt(0)
	global_atomic_cmpswap_x2 v[16:17], v3, v[16:19], s[12:13] offset:32 glc
	s_waitcnt vmcnt(0)
	v_cmp_eq_u64_e32 vcc, v[16:17], v[18:19]
	s_or_b64 s[24:25], vcc, s[24:25]
	v_pk_mov_b32 v[18:19], v[16:17], v[16:17] op_sel:[0,1]
	s_andn2_b64 exec, exec, s[24:25]
	s_cbranch_execnz .LBB1_16
.LBB1_17:                               ;   in Loop: Header=BB1_5 Depth=1
	s_or_b64 exec, exec, s[22:23]
	global_load_dwordx2 v[16:17], v3, s[12:13] offset:16
	s_mov_b64 s[24:25], exec
	v_mbcnt_lo_u32_b32 v2, s24, 0
	v_mbcnt_hi_u32_b32 v2, s25, v2
	v_cmp_eq_u32_e32 vcc, 0, v2
	s_and_saveexec_b64 s[22:23], vcc
	s_cbranch_execz .LBB1_19
; %bb.18:                               ;   in Loop: Header=BB1_5 Depth=1
	s_bcnt1_i32_b64 s24, s[24:25]
	v_mov_b32_e32 v2, s24
	buffer_wbl2
	s_waitcnt vmcnt(0)
	global_atomic_add_x2 v[16:17], v[2:3], off offset:8
.LBB1_19:                               ;   in Loop: Header=BB1_5 Depth=1
	s_or_b64 exec, exec, s[22:23]
	s_waitcnt vmcnt(0)
	global_load_dwordx2 v[18:19], v[16:17], off offset:16
	s_waitcnt vmcnt(0)
	v_cmp_eq_u64_e32 vcc, 0, v[18:19]
	s_cbranch_vccnz .LBB1_21
; %bb.20:                               ;   in Loop: Header=BB1_5 Depth=1
	global_load_dword v2, v[16:17], off offset:24
	buffer_wbl2
	s_waitcnt vmcnt(0)
	global_store_dwordx2 v[18:19], v[2:3], off
	v_and_b32_e32 v2, 0xffffff, v2
	v_readfirstlane_b32 m0, v2
	s_sendmsg sendmsg(MSG_INTERRUPT)
.LBB1_21:                               ;   in Loop: Header=BB1_5 Depth=1
	s_or_b64 exec, exec, s[20:21]
	v_add_co_u32_e32 v4, vcc, v4, v39
	v_addc_co_u32_e32 v5, vcc, 0, v5, vcc
	s_branch .LBB1_25
.LBB1_22:                               ;   in Loop: Header=BB1_25 Depth=2
	s_or_b64 exec, exec, s[20:21]
	v_readfirstlane_b32 s20, v2
	s_cmp_eq_u32 s20, 0
	s_cbranch_scc1 .LBB1_24
; %bb.23:                               ;   in Loop: Header=BB1_25 Depth=2
	s_sleep 1
	s_cbranch_execnz .LBB1_25
	s_branch .LBB1_27
.LBB1_24:                               ;   in Loop: Header=BB1_5 Depth=1
	s_branch .LBB1_27
.LBB1_25:                               ;   Parent Loop BB1_5 Depth=1
                                        ; =>  This Inner Loop Header: Depth=2
	v_mov_b32_e32 v2, 1
	s_and_saveexec_b64 s[20:21], s[2:3]
	s_cbranch_execz .LBB1_22
; %bb.26:                               ;   in Loop: Header=BB1_25 Depth=2
	global_load_dword v2, v[0:1], off offset:20 glc
	s_waitcnt vmcnt(0)
	buffer_invl2
	buffer_wbinvl1_vol
	v_and_b32_e32 v2, 1, v2
	s_branch .LBB1_22
.LBB1_27:                               ;   in Loop: Header=BB1_5 Depth=1
	global_load_dwordx2 v[0:1], v[4:5], off
	s_and_saveexec_b64 s[20:21], s[2:3]
	s_cbranch_execz .LBB1_31
; %bb.28:                               ;   in Loop: Header=BB1_5 Depth=1
	global_load_dwordx2 v[4:5], v3, s[12:13] offset:40
	global_load_dwordx2 v[20:21], v3, s[12:13] offset:24 glc
	global_load_dwordx2 v[22:23], v3, s[12:13]
	v_mov_b32_e32 v2, s19
	s_waitcnt vmcnt(2)
	v_add_co_u32_e32 v19, vcc, 1, v4
	v_addc_co_u32_e32 v24, vcc, 0, v5, vcc
	v_add_co_u32_e32 v16, vcc, s18, v19
	v_addc_co_u32_e32 v17, vcc, v24, v2, vcc
	v_cmp_eq_u64_e32 vcc, 0, v[16:17]
	v_cndmask_b32_e32 v17, v17, v24, vcc
	v_cndmask_b32_e32 v16, v16, v19, vcc
	v_and_b32_e32 v2, v17, v5
	v_and_b32_e32 v4, v16, v4
	v_mul_lo_u32 v2, v2, 24
	v_mul_hi_u32 v5, v4, 24
	v_mul_lo_u32 v4, v4, 24
	v_add_u32_e32 v2, v5, v2
	s_waitcnt vmcnt(0)
	v_add_co_u32_e32 v4, vcc, v22, v4
	v_addc_co_u32_e32 v5, vcc, v23, v2, vcc
	v_mov_b32_e32 v18, v20
	global_store_dwordx2 v[4:5], v[20:21], off
	v_mov_b32_e32 v19, v21
	buffer_wbl2
	s_waitcnt vmcnt(0)
	global_atomic_cmpswap_x2 v[18:19], v3, v[16:19], s[12:13] offset:24 glc
	s_waitcnt vmcnt(0)
	v_cmp_ne_u64_e32 vcc, v[18:19], v[20:21]
	s_and_b64 exec, exec, vcc
	s_cbranch_execz .LBB1_31
; %bb.29:                               ;   in Loop: Header=BB1_5 Depth=1
	s_mov_b64 s[2:3], 0
.LBB1_30:                               ;   Parent Loop BB1_5 Depth=1
                                        ; =>  This Inner Loop Header: Depth=2
	s_sleep 1
	global_store_dwordx2 v[4:5], v[18:19], off
	buffer_wbl2
	s_waitcnt vmcnt(0)
	global_atomic_cmpswap_x2 v[20:21], v3, v[16:19], s[12:13] offset:24 glc
	s_waitcnt vmcnt(0)
	v_cmp_eq_u64_e32 vcc, v[20:21], v[18:19]
	s_or_b64 s[2:3], vcc, s[2:3]
	v_pk_mov_b32 v[18:19], v[20:21], v[20:21] op_sel:[0,1]
	s_andn2_b64 exec, exec, s[2:3]
	s_cbranch_execnz .LBB1_30
.LBB1_31:                               ;   in Loop: Header=BB1_5 Depth=1
	s_or_b64 exec, exec, s[20:21]
	s_and_b64 vcc, exec, s[14:15]
	s_cbranch_vccz .LBB1_201
; %bb.32:                               ;   in Loop: Header=BB1_5 Depth=1
	s_waitcnt vmcnt(0)
	v_and_b32_e32 v36, 2, v0
	v_and_b32_e32 v16, -3, v0
	v_mov_b32_e32 v17, v1
	s_mov_b64 s[20:21], 3
	s_getpc_b64 s[18:19]
	s_add_u32 s18, s18, .str@rel32@lo+4
	s_addc_u32 s19, s19, .str@rel32@hi+12
	s_branch .LBB1_34
.LBB1_33:                               ;   in Loop: Header=BB1_34 Depth=2
	s_or_b64 exec, exec, s[26:27]
	s_sub_u32 s20, s20, s22
	s_subb_u32 s21, s21, s23
	s_add_u32 s18, s18, s22
	s_addc_u32 s19, s19, s23
	s_cmp_lg_u64 s[20:21], 0
	s_cbranch_scc0 .LBB1_115
.LBB1_34:                               ;   Parent Loop BB1_5 Depth=1
                                        ; =>  This Loop Header: Depth=2
                                        ;       Child Loop BB1_37 Depth 3
                                        ;       Child Loop BB1_44 Depth 3
	;; [unrolled: 1-line block ×11, first 2 shown]
	v_cmp_lt_u64_e64 s[2:3], s[20:21], 56
	s_and_b64 s[2:3], s[2:3], exec
	v_cmp_gt_u64_e64 s[2:3], s[20:21], 7
	s_cselect_b32 s23, s21, 0
	s_cselect_b32 s22, s20, 56
	s_and_b64 vcc, exec, s[2:3]
	s_cbranch_vccnz .LBB1_39
; %bb.35:                               ;   in Loop: Header=BB1_34 Depth=2
	s_mov_b64 s[2:3], 0
	s_cmp_eq_u64 s[20:21], 0
	s_waitcnt vmcnt(0)
	v_pk_mov_b32 v[18:19], 0, 0
	s_cbranch_scc1 .LBB1_38
; %bb.36:                               ;   in Loop: Header=BB1_34 Depth=2
	s_lshl_b64 s[24:25], s[22:23], 3
	s_mov_b64 s[26:27], 0
	v_pk_mov_b32 v[18:19], 0, 0
	s_mov_b64 s[28:29], s[18:19]
.LBB1_37:                               ;   Parent Loop BB1_5 Depth=1
                                        ;     Parent Loop BB1_34 Depth=2
                                        ; =>    This Inner Loop Header: Depth=3
	global_load_ubyte v2, v3, s[28:29]
	s_waitcnt vmcnt(0)
	v_and_b32_e32 v2, 0xffff, v2
	v_lshlrev_b64 v[4:5], s26, v[2:3]
	s_add_u32 s26, s26, 8
	s_addc_u32 s27, s27, 0
	s_add_u32 s28, s28, 1
	s_addc_u32 s29, s29, 0
	v_or_b32_e32 v18, v4, v18
	s_cmp_lg_u32 s24, s26
	v_or_b32_e32 v19, v5, v19
	s_cbranch_scc1 .LBB1_37
.LBB1_38:                               ;   in Loop: Header=BB1_34 Depth=2
	s_mov_b32 s28, 0
	s_andn2_b64 vcc, exec, s[2:3]
	s_mov_b64 s[2:3], s[18:19]
	s_cbranch_vccz .LBB1_40
	s_branch .LBB1_41
.LBB1_39:                               ;   in Loop: Header=BB1_34 Depth=2
                                        ; implicit-def: $vgpr18_vgpr19
                                        ; implicit-def: $sgpr28
	s_mov_b64 s[2:3], s[18:19]
.LBB1_40:                               ;   in Loop: Header=BB1_34 Depth=2
	global_load_dwordx2 v[18:19], v3, s[18:19]
	s_add_i32 s28, s22, -8
	s_add_u32 s2, s18, 8
	s_addc_u32 s3, s19, 0
.LBB1_41:                               ;   in Loop: Header=BB1_34 Depth=2
	s_cmp_gt_u32 s28, 7
	s_cbranch_scc1 .LBB1_45
; %bb.42:                               ;   in Loop: Header=BB1_34 Depth=2
	s_cmp_eq_u32 s28, 0
	s_cbranch_scc1 .LBB1_46
; %bb.43:                               ;   in Loop: Header=BB1_34 Depth=2
	s_mov_b64 s[24:25], 0
	v_pk_mov_b32 v[20:21], 0, 0
	s_mov_b64 s[26:27], 0
.LBB1_44:                               ;   Parent Loop BB1_5 Depth=1
                                        ;     Parent Loop BB1_34 Depth=2
                                        ; =>    This Inner Loop Header: Depth=3
	s_add_u32 s30, s2, s26
	s_addc_u32 s31, s3, s27
	global_load_ubyte v2, v3, s[30:31]
	s_add_u32 s26, s26, 1
	s_addc_u32 s27, s27, 0
	s_waitcnt vmcnt(0)
	v_and_b32_e32 v2, 0xffff, v2
	v_lshlrev_b64 v[4:5], s24, v[2:3]
	s_add_u32 s24, s24, 8
	s_addc_u32 s25, s25, 0
	v_or_b32_e32 v20, v4, v20
	s_cmp_lg_u32 s28, s26
	v_or_b32_e32 v21, v5, v21
	s_cbranch_scc1 .LBB1_44
	s_branch .LBB1_47
.LBB1_45:                               ;   in Loop: Header=BB1_34 Depth=2
                                        ; implicit-def: $vgpr20_vgpr21
                                        ; implicit-def: $sgpr29
	s_branch .LBB1_48
.LBB1_46:                               ;   in Loop: Header=BB1_34 Depth=2
	v_pk_mov_b32 v[20:21], 0, 0
.LBB1_47:                               ;   in Loop: Header=BB1_34 Depth=2
	s_mov_b32 s29, 0
	s_cbranch_execnz .LBB1_49
.LBB1_48:                               ;   in Loop: Header=BB1_34 Depth=2
	global_load_dwordx2 v[20:21], v3, s[2:3]
	s_add_i32 s29, s28, -8
	s_add_u32 s2, s2, 8
	s_addc_u32 s3, s3, 0
.LBB1_49:                               ;   in Loop: Header=BB1_34 Depth=2
	s_cmp_gt_u32 s29, 7
	s_cbranch_scc1 .LBB1_53
; %bb.50:                               ;   in Loop: Header=BB1_34 Depth=2
	s_cmp_eq_u32 s29, 0
	s_cbranch_scc1 .LBB1_54
; %bb.51:                               ;   in Loop: Header=BB1_34 Depth=2
	s_mov_b64 s[24:25], 0
	v_pk_mov_b32 v[22:23], 0, 0
	s_mov_b64 s[26:27], 0
.LBB1_52:                               ;   Parent Loop BB1_5 Depth=1
                                        ;     Parent Loop BB1_34 Depth=2
                                        ; =>    This Inner Loop Header: Depth=3
	s_add_u32 s30, s2, s26
	s_addc_u32 s31, s3, s27
	global_load_ubyte v2, v3, s[30:31]
	s_add_u32 s26, s26, 1
	s_addc_u32 s27, s27, 0
	s_waitcnt vmcnt(0)
	v_and_b32_e32 v2, 0xffff, v2
	v_lshlrev_b64 v[4:5], s24, v[2:3]
	s_add_u32 s24, s24, 8
	s_addc_u32 s25, s25, 0
	v_or_b32_e32 v22, v4, v22
	s_cmp_lg_u32 s29, s26
	v_or_b32_e32 v23, v5, v23
	s_cbranch_scc1 .LBB1_52
	s_branch .LBB1_55
.LBB1_53:                               ;   in Loop: Header=BB1_34 Depth=2
                                        ; implicit-def: $sgpr28
	s_branch .LBB1_56
.LBB1_54:                               ;   in Loop: Header=BB1_34 Depth=2
	v_pk_mov_b32 v[22:23], 0, 0
.LBB1_55:                               ;   in Loop: Header=BB1_34 Depth=2
	s_mov_b32 s28, 0
	s_cbranch_execnz .LBB1_57
.LBB1_56:                               ;   in Loop: Header=BB1_34 Depth=2
	global_load_dwordx2 v[22:23], v3, s[2:3]
	s_add_i32 s28, s29, -8
	s_add_u32 s2, s2, 8
	s_addc_u32 s3, s3, 0
.LBB1_57:                               ;   in Loop: Header=BB1_34 Depth=2
	s_cmp_gt_u32 s28, 7
	s_cbranch_scc1 .LBB1_61
; %bb.58:                               ;   in Loop: Header=BB1_34 Depth=2
	s_cmp_eq_u32 s28, 0
	s_cbranch_scc1 .LBB1_62
; %bb.59:                               ;   in Loop: Header=BB1_34 Depth=2
	s_mov_b64 s[24:25], 0
	v_pk_mov_b32 v[24:25], 0, 0
	s_mov_b64 s[26:27], 0
.LBB1_60:                               ;   Parent Loop BB1_5 Depth=1
                                        ;     Parent Loop BB1_34 Depth=2
                                        ; =>    This Inner Loop Header: Depth=3
	s_add_u32 s30, s2, s26
	s_addc_u32 s31, s3, s27
	global_load_ubyte v2, v3, s[30:31]
	s_add_u32 s26, s26, 1
	s_addc_u32 s27, s27, 0
	s_waitcnt vmcnt(0)
	v_and_b32_e32 v2, 0xffff, v2
	v_lshlrev_b64 v[4:5], s24, v[2:3]
	s_add_u32 s24, s24, 8
	s_addc_u32 s25, s25, 0
	v_or_b32_e32 v24, v4, v24
	s_cmp_lg_u32 s28, s26
	v_or_b32_e32 v25, v5, v25
	s_cbranch_scc1 .LBB1_60
	s_branch .LBB1_63
.LBB1_61:                               ;   in Loop: Header=BB1_34 Depth=2
                                        ; implicit-def: $vgpr24_vgpr25
                                        ; implicit-def: $sgpr29
	s_branch .LBB1_64
.LBB1_62:                               ;   in Loop: Header=BB1_34 Depth=2
	v_pk_mov_b32 v[24:25], 0, 0
.LBB1_63:                               ;   in Loop: Header=BB1_34 Depth=2
	s_mov_b32 s29, 0
	s_cbranch_execnz .LBB1_65
.LBB1_64:                               ;   in Loop: Header=BB1_34 Depth=2
	global_load_dwordx2 v[24:25], v3, s[2:3]
	s_add_i32 s29, s28, -8
	s_add_u32 s2, s2, 8
	s_addc_u32 s3, s3, 0
.LBB1_65:                               ;   in Loop: Header=BB1_34 Depth=2
	s_cmp_gt_u32 s29, 7
	s_cbranch_scc1 .LBB1_69
; %bb.66:                               ;   in Loop: Header=BB1_34 Depth=2
	s_cmp_eq_u32 s29, 0
	s_cbranch_scc1 .LBB1_70
; %bb.67:                               ;   in Loop: Header=BB1_34 Depth=2
	s_mov_b64 s[24:25], 0
	v_pk_mov_b32 v[26:27], 0, 0
	s_mov_b64 s[26:27], 0
.LBB1_68:                               ;   Parent Loop BB1_5 Depth=1
                                        ;     Parent Loop BB1_34 Depth=2
                                        ; =>    This Inner Loop Header: Depth=3
	s_add_u32 s30, s2, s26
	s_addc_u32 s31, s3, s27
	global_load_ubyte v2, v3, s[30:31]
	s_add_u32 s26, s26, 1
	s_addc_u32 s27, s27, 0
	s_waitcnt vmcnt(0)
	v_and_b32_e32 v2, 0xffff, v2
	v_lshlrev_b64 v[4:5], s24, v[2:3]
	s_add_u32 s24, s24, 8
	s_addc_u32 s25, s25, 0
	v_or_b32_e32 v26, v4, v26
	s_cmp_lg_u32 s29, s26
	v_or_b32_e32 v27, v5, v27
	s_cbranch_scc1 .LBB1_68
	s_branch .LBB1_71
.LBB1_69:                               ;   in Loop: Header=BB1_34 Depth=2
                                        ; implicit-def: $sgpr28
	s_branch .LBB1_72
.LBB1_70:                               ;   in Loop: Header=BB1_34 Depth=2
	v_pk_mov_b32 v[26:27], 0, 0
.LBB1_71:                               ;   in Loop: Header=BB1_34 Depth=2
	s_mov_b32 s28, 0
	s_cbranch_execnz .LBB1_73
.LBB1_72:                               ;   in Loop: Header=BB1_34 Depth=2
	global_load_dwordx2 v[26:27], v3, s[2:3]
	s_add_i32 s28, s29, -8
	s_add_u32 s2, s2, 8
	s_addc_u32 s3, s3, 0
.LBB1_73:                               ;   in Loop: Header=BB1_34 Depth=2
	s_cmp_gt_u32 s28, 7
	s_cbranch_scc1 .LBB1_77
; %bb.74:                               ;   in Loop: Header=BB1_34 Depth=2
	s_cmp_eq_u32 s28, 0
	s_cbranch_scc1 .LBB1_78
; %bb.75:                               ;   in Loop: Header=BB1_34 Depth=2
	s_mov_b64 s[24:25], 0
	v_pk_mov_b32 v[28:29], 0, 0
	s_mov_b64 s[26:27], 0
.LBB1_76:                               ;   Parent Loop BB1_5 Depth=1
                                        ;     Parent Loop BB1_34 Depth=2
                                        ; =>    This Inner Loop Header: Depth=3
	s_add_u32 s30, s2, s26
	s_addc_u32 s31, s3, s27
	global_load_ubyte v2, v3, s[30:31]
	s_add_u32 s26, s26, 1
	s_addc_u32 s27, s27, 0
	s_waitcnt vmcnt(0)
	v_and_b32_e32 v2, 0xffff, v2
	v_lshlrev_b64 v[4:5], s24, v[2:3]
	s_add_u32 s24, s24, 8
	s_addc_u32 s25, s25, 0
	v_or_b32_e32 v28, v4, v28
	s_cmp_lg_u32 s28, s26
	v_or_b32_e32 v29, v5, v29
	s_cbranch_scc1 .LBB1_76
	s_branch .LBB1_79
.LBB1_77:                               ;   in Loop: Header=BB1_34 Depth=2
                                        ; implicit-def: $vgpr28_vgpr29
                                        ; implicit-def: $sgpr29
	s_branch .LBB1_80
.LBB1_78:                               ;   in Loop: Header=BB1_34 Depth=2
	v_pk_mov_b32 v[28:29], 0, 0
.LBB1_79:                               ;   in Loop: Header=BB1_34 Depth=2
	s_mov_b32 s29, 0
	s_cbranch_execnz .LBB1_81
.LBB1_80:                               ;   in Loop: Header=BB1_34 Depth=2
	global_load_dwordx2 v[28:29], v3, s[2:3]
	s_add_i32 s29, s28, -8
	s_add_u32 s2, s2, 8
	s_addc_u32 s3, s3, 0
.LBB1_81:                               ;   in Loop: Header=BB1_34 Depth=2
	s_cmp_gt_u32 s29, 7
	s_cbranch_scc1 .LBB1_85
; %bb.82:                               ;   in Loop: Header=BB1_34 Depth=2
	s_cmp_eq_u32 s29, 0
	s_cbranch_scc1 .LBB1_86
; %bb.83:                               ;   in Loop: Header=BB1_34 Depth=2
	s_mov_b64 s[24:25], 0
	v_pk_mov_b32 v[30:31], 0, 0
	s_mov_b64 s[26:27], s[2:3]
.LBB1_84:                               ;   Parent Loop BB1_5 Depth=1
                                        ;     Parent Loop BB1_34 Depth=2
                                        ; =>    This Inner Loop Header: Depth=3
	global_load_ubyte v2, v3, s[26:27]
	s_add_i32 s29, s29, -1
	s_waitcnt vmcnt(0)
	v_and_b32_e32 v2, 0xffff, v2
	v_lshlrev_b64 v[4:5], s24, v[2:3]
	s_add_u32 s24, s24, 8
	s_addc_u32 s25, s25, 0
	s_add_u32 s26, s26, 1
	s_addc_u32 s27, s27, 0
	v_or_b32_e32 v30, v4, v30
	s_cmp_lg_u32 s29, 0
	v_or_b32_e32 v31, v5, v31
	s_cbranch_scc1 .LBB1_84
	s_branch .LBB1_87
.LBB1_85:                               ;   in Loop: Header=BB1_34 Depth=2
	s_branch .LBB1_88
.LBB1_86:                               ;   in Loop: Header=BB1_34 Depth=2
	v_pk_mov_b32 v[30:31], 0, 0
.LBB1_87:                               ;   in Loop: Header=BB1_34 Depth=2
	s_cbranch_execnz .LBB1_89
.LBB1_88:                               ;   in Loop: Header=BB1_34 Depth=2
	global_load_dwordx2 v[30:31], v3, s[2:3]
.LBB1_89:                               ;   in Loop: Header=BB1_34 Depth=2
	v_readfirstlane_b32 s2, v38
	v_cmp_eq_u32_e64 s[2:3], s2, v38
	v_pk_mov_b32 v[4:5], 0, 0
	s_and_saveexec_b64 s[24:25], s[2:3]
	s_cbranch_execz .LBB1_95
; %bb.90:                               ;   in Loop: Header=BB1_34 Depth=2
	global_load_dwordx2 v[34:35], v3, s[12:13] offset:24 glc
	s_waitcnt vmcnt(0)
	buffer_invl2
	buffer_wbinvl1_vol
	global_load_dwordx2 v[4:5], v3, s[12:13] offset:40
	global_load_dwordx2 v[32:33], v3, s[12:13]
	s_waitcnt vmcnt(1)
	v_and_b32_e32 v2, v4, v34
	v_and_b32_e32 v4, v5, v35
	v_mul_lo_u32 v4, v4, 24
	v_mul_hi_u32 v5, v2, 24
	v_mul_lo_u32 v2, v2, 24
	v_add_u32_e32 v5, v5, v4
	s_waitcnt vmcnt(0)
	v_add_co_u32_e32 v4, vcc, v32, v2
	v_addc_co_u32_e32 v5, vcc, v33, v5, vcc
	global_load_dwordx2 v[32:33], v[4:5], off glc
	s_waitcnt vmcnt(0)
	global_atomic_cmpswap_x2 v[4:5], v3, v[32:35], s[12:13] offset:24 glc
	s_waitcnt vmcnt(0)
	buffer_invl2
	buffer_wbinvl1_vol
	v_cmp_ne_u64_e32 vcc, v[4:5], v[34:35]
	s_and_saveexec_b64 s[26:27], vcc
	s_cbranch_execz .LBB1_94
; %bb.91:                               ;   in Loop: Header=BB1_34 Depth=2
	s_mov_b64 s[28:29], 0
.LBB1_92:                               ;   Parent Loop BB1_5 Depth=1
                                        ;     Parent Loop BB1_34 Depth=2
                                        ; =>    This Inner Loop Header: Depth=3
	s_sleep 1
	global_load_dwordx2 v[32:33], v3, s[12:13] offset:40
	global_load_dwordx2 v[40:41], v3, s[12:13]
	v_pk_mov_b32 v[34:35], v[4:5], v[4:5] op_sel:[0,1]
	s_waitcnt vmcnt(1)
	v_and_b32_e32 v2, v32, v34
	s_waitcnt vmcnt(0)
	v_mad_u64_u32 v[4:5], s[30:31], v2, 24, v[40:41]
	v_and_b32_e32 v33, v33, v35
	v_mov_b32_e32 v2, v5
	v_mad_u64_u32 v[32:33], s[30:31], v33, 24, v[2:3]
	v_mov_b32_e32 v5, v32
	global_load_dwordx2 v[32:33], v[4:5], off glc
	s_waitcnt vmcnt(0)
	global_atomic_cmpswap_x2 v[4:5], v3, v[32:35], s[12:13] offset:24 glc
	s_waitcnt vmcnt(0)
	buffer_invl2
	buffer_wbinvl1_vol
	v_cmp_eq_u64_e32 vcc, v[4:5], v[34:35]
	s_or_b64 s[28:29], vcc, s[28:29]
	s_andn2_b64 exec, exec, s[28:29]
	s_cbranch_execnz .LBB1_92
; %bb.93:                               ;   in Loop: Header=BB1_34 Depth=2
	s_or_b64 exec, exec, s[28:29]
.LBB1_94:                               ;   in Loop: Header=BB1_34 Depth=2
	s_or_b64 exec, exec, s[26:27]
.LBB1_95:                               ;   in Loop: Header=BB1_34 Depth=2
	s_or_b64 exec, exec, s[24:25]
	global_load_dwordx2 v[40:41], v3, s[12:13] offset:40
	global_load_dwordx4 v[32:35], v3, s[12:13]
	v_readfirstlane_b32 s24, v4
	v_readfirstlane_b32 s25, v5
	s_mov_b64 s[26:27], exec
	s_waitcnt vmcnt(1)
	v_readfirstlane_b32 s28, v40
	v_readfirstlane_b32 s29, v41
	s_and_b64 s[28:29], s[24:25], s[28:29]
	s_mul_i32 s30, s29, 24
	s_mul_hi_u32 s31, s28, 24
	s_mul_i32 s37, s28, 24
	s_add_i32 s30, s31, s30
	v_mov_b32_e32 v2, s30
	s_waitcnt vmcnt(0)
	v_add_co_u32_e32 v40, vcc, s37, v32
	v_addc_co_u32_e32 v41, vcc, v33, v2, vcc
	s_and_saveexec_b64 s[30:31], s[2:3]
	s_cbranch_execz .LBB1_97
; %bb.96:                               ;   in Loop: Header=BB1_34 Depth=2
	v_pk_mov_b32 v[4:5], s[26:27], s[26:27] op_sel:[0,1]
	global_store_dwordx4 v[40:41], v[4:7], off offset:8
.LBB1_97:                               ;   in Loop: Header=BB1_34 Depth=2
	s_or_b64 exec, exec, s[30:31]
	s_lshl_b64 s[26:27], s[28:29], 12
	v_mov_b32_e32 v2, s27
	v_add_co_u32_e32 v4, vcc, s26, v34
	v_addc_co_u32_e32 v5, vcc, v35, v2, vcc
	v_or_b32_e32 v2, 0, v17
	v_or_b32_e32 v34, v16, v36
	v_cmp_gt_u64_e64 vcc, s[20:21], 56
	s_lshl_b32 s26, s22, 2
	v_cndmask_b32_e32 v17, v2, v17, vcc
	v_cndmask_b32_e32 v2, v34, v16, vcc
	s_add_i32 s26, s26, 28
	s_and_b32 s26, s26, 0x1e0
	v_and_b32_e32 v2, 0xffffff1f, v2
	v_or_b32_e32 v16, s26, v2
	v_readfirstlane_b32 s26, v4
	v_readfirstlane_b32 s27, v5
	s_nop 4
	global_store_dwordx4 v39, v[16:19], s[26:27]
	global_store_dwordx4 v39, v[20:23], s[26:27] offset:16
	global_store_dwordx4 v39, v[24:27], s[26:27] offset:32
	;; [unrolled: 1-line block ×3, first 2 shown]
	s_and_saveexec_b64 s[26:27], s[2:3]
	s_cbranch_execz .LBB1_105
; %bb.98:                               ;   in Loop: Header=BB1_34 Depth=2
	global_load_dwordx2 v[24:25], v3, s[12:13] offset:32 glc
	global_load_dwordx2 v[16:17], v3, s[12:13] offset:40
	v_mov_b32_e32 v22, s24
	v_mov_b32_e32 v23, s25
	s_waitcnt vmcnt(0)
	v_readfirstlane_b32 s28, v16
	v_readfirstlane_b32 s29, v17
	s_and_b64 s[28:29], s[28:29], s[24:25]
	s_mul_i32 s29, s29, 24
	s_mul_hi_u32 s30, s28, 24
	s_mul_i32 s28, s28, 24
	s_add_i32 s29, s30, s29
	v_mov_b32_e32 v2, s29
	v_add_co_u32_e32 v20, vcc, s28, v32
	v_addc_co_u32_e32 v21, vcc, v33, v2, vcc
	global_store_dwordx2 v[20:21], v[24:25], off
	buffer_wbl2
	s_waitcnt vmcnt(0)
	global_atomic_cmpswap_x2 v[18:19], v3, v[22:25], s[12:13] offset:32 glc
	s_waitcnt vmcnt(0)
	v_cmp_ne_u64_e32 vcc, v[18:19], v[24:25]
	s_and_saveexec_b64 s[28:29], vcc
	s_cbranch_execz .LBB1_101
; %bb.99:                               ;   in Loop: Header=BB1_34 Depth=2
	s_mov_b64 s[30:31], 0
.LBB1_100:                              ;   Parent Loop BB1_5 Depth=1
                                        ;     Parent Loop BB1_34 Depth=2
                                        ; =>    This Inner Loop Header: Depth=3
	s_sleep 1
	global_store_dwordx2 v[20:21], v[18:19], off
	v_mov_b32_e32 v16, s24
	v_mov_b32_e32 v17, s25
	buffer_wbl2
	s_waitcnt vmcnt(0)
	global_atomic_cmpswap_x2 v[16:17], v3, v[16:19], s[12:13] offset:32 glc
	s_waitcnt vmcnt(0)
	v_cmp_eq_u64_e32 vcc, v[16:17], v[18:19]
	s_or_b64 s[30:31], vcc, s[30:31]
	v_pk_mov_b32 v[18:19], v[16:17], v[16:17] op_sel:[0,1]
	s_andn2_b64 exec, exec, s[30:31]
	s_cbranch_execnz .LBB1_100
.LBB1_101:                              ;   in Loop: Header=BB1_34 Depth=2
	s_or_b64 exec, exec, s[28:29]
	global_load_dwordx2 v[16:17], v3, s[12:13] offset:16
	s_mov_b64 s[30:31], exec
	v_mbcnt_lo_u32_b32 v2, s30, 0
	v_mbcnt_hi_u32_b32 v2, s31, v2
	v_cmp_eq_u32_e32 vcc, 0, v2
	s_and_saveexec_b64 s[28:29], vcc
	s_cbranch_execz .LBB1_103
; %bb.102:                              ;   in Loop: Header=BB1_34 Depth=2
	s_bcnt1_i32_b64 s30, s[30:31]
	v_mov_b32_e32 v2, s30
	buffer_wbl2
	s_waitcnt vmcnt(0)
	global_atomic_add_x2 v[16:17], v[2:3], off offset:8
.LBB1_103:                              ;   in Loop: Header=BB1_34 Depth=2
	s_or_b64 exec, exec, s[28:29]
	s_waitcnt vmcnt(0)
	global_load_dwordx2 v[18:19], v[16:17], off offset:16
	s_waitcnt vmcnt(0)
	v_cmp_eq_u64_e32 vcc, 0, v[18:19]
	s_cbranch_vccnz .LBB1_105
; %bb.104:                              ;   in Loop: Header=BB1_34 Depth=2
	global_load_dword v2, v[16:17], off offset:24
	buffer_wbl2
	s_waitcnt vmcnt(0)
	global_store_dwordx2 v[18:19], v[2:3], off
	v_and_b32_e32 v2, 0xffffff, v2
	v_readfirstlane_b32 m0, v2
	s_sendmsg sendmsg(MSG_INTERRUPT)
.LBB1_105:                              ;   in Loop: Header=BB1_34 Depth=2
	s_or_b64 exec, exec, s[26:27]
	v_add_co_u32_e32 v4, vcc, v4, v39
	v_addc_co_u32_e32 v5, vcc, 0, v5, vcc
	s_branch .LBB1_109
.LBB1_106:                              ;   in Loop: Header=BB1_109 Depth=3
	s_or_b64 exec, exec, s[26:27]
	v_readfirstlane_b32 s26, v2
	s_cmp_eq_u32 s26, 0
	s_cbranch_scc1 .LBB1_108
; %bb.107:                              ;   in Loop: Header=BB1_109 Depth=3
	s_sleep 1
	s_cbranch_execnz .LBB1_109
	s_branch .LBB1_111
.LBB1_108:                              ;   in Loop: Header=BB1_34 Depth=2
	s_branch .LBB1_111
.LBB1_109:                              ;   Parent Loop BB1_5 Depth=1
                                        ;     Parent Loop BB1_34 Depth=2
                                        ; =>    This Inner Loop Header: Depth=3
	v_mov_b32_e32 v2, 1
	s_and_saveexec_b64 s[26:27], s[2:3]
	s_cbranch_execz .LBB1_106
; %bb.110:                              ;   in Loop: Header=BB1_109 Depth=3
	global_load_dword v2, v[40:41], off offset:20 glc
	s_waitcnt vmcnt(0)
	buffer_invl2
	buffer_wbinvl1_vol
	v_and_b32_e32 v2, 1, v2
	s_branch .LBB1_106
.LBB1_111:                              ;   in Loop: Header=BB1_34 Depth=2
	global_load_dwordx4 v[16:19], v[4:5], off
	s_and_saveexec_b64 s[26:27], s[2:3]
	s_cbranch_execz .LBB1_33
; %bb.112:                              ;   in Loop: Header=BB1_34 Depth=2
	global_load_dwordx2 v[4:5], v3, s[12:13] offset:40
	global_load_dwordx2 v[22:23], v3, s[12:13] offset:24 glc
	global_load_dwordx2 v[24:25], v3, s[12:13]
	v_mov_b32_e32 v2, s25
	s_waitcnt vmcnt(2)
	v_add_co_u32_e32 v21, vcc, 1, v4
	v_addc_co_u32_e32 v26, vcc, 0, v5, vcc
	v_add_co_u32_e32 v18, vcc, s24, v21
	v_addc_co_u32_e32 v19, vcc, v26, v2, vcc
	v_cmp_eq_u64_e32 vcc, 0, v[18:19]
	v_cndmask_b32_e32 v19, v19, v26, vcc
	v_cndmask_b32_e32 v18, v18, v21, vcc
	v_and_b32_e32 v2, v19, v5
	v_and_b32_e32 v4, v18, v4
	v_mul_lo_u32 v2, v2, 24
	v_mul_hi_u32 v5, v4, 24
	v_mul_lo_u32 v4, v4, 24
	v_add_u32_e32 v2, v5, v2
	s_waitcnt vmcnt(0)
	v_add_co_u32_e32 v4, vcc, v24, v4
	v_addc_co_u32_e32 v5, vcc, v25, v2, vcc
	v_mov_b32_e32 v20, v22
	global_store_dwordx2 v[4:5], v[22:23], off
	v_mov_b32_e32 v21, v23
	buffer_wbl2
	s_waitcnt vmcnt(0)
	global_atomic_cmpswap_x2 v[20:21], v3, v[18:21], s[12:13] offset:24 glc
	s_waitcnt vmcnt(0)
	v_cmp_ne_u64_e32 vcc, v[20:21], v[22:23]
	s_and_b64 exec, exec, vcc
	s_cbranch_execz .LBB1_33
; %bb.113:                              ;   in Loop: Header=BB1_34 Depth=2
	s_mov_b64 s[2:3], 0
.LBB1_114:                              ;   Parent Loop BB1_5 Depth=1
                                        ;     Parent Loop BB1_34 Depth=2
                                        ; =>    This Inner Loop Header: Depth=3
	s_sleep 1
	global_store_dwordx2 v[4:5], v[20:21], off
	buffer_wbl2
	s_waitcnt vmcnt(0)
	global_atomic_cmpswap_x2 v[22:23], v3, v[18:21], s[12:13] offset:24 glc
	s_waitcnt vmcnt(0)
	v_cmp_eq_u64_e32 vcc, v[22:23], v[20:21]
	s_or_b64 s[2:3], vcc, s[2:3]
	v_pk_mov_b32 v[20:21], v[22:23], v[22:23] op_sel:[0,1]
	s_andn2_b64 exec, exec, s[2:3]
	s_cbranch_execnz .LBB1_114
	s_branch .LBB1_33
.LBB1_115:                              ;   in Loop: Header=BB1_5 Depth=1
.LBB1_116:                              ;   in Loop: Header=BB1_5 Depth=1
	s_and_b64 vcc, exec, s[16:17]
	s_cbranch_vccz .LBB1_229
.LBB1_117:                              ;   in Loop: Header=BB1_5 Depth=1
	s_waitcnt vmcnt(0)
	v_and_b32_e32 v18, -3, v16
	v_mov_b32_e32 v19, v17
	s_mov_b64 s[20:21], 45
	s_getpc_b64 s[18:19]
	s_add_u32 s18, s18, .str.3@rel32@lo+4
	s_addc_u32 s19, s19, .str.3@rel32@hi+12
	s_branch .LBB1_119
.LBB1_118:                              ;   in Loop: Header=BB1_119 Depth=2
	s_or_b64 exec, exec, s[26:27]
	s_sub_u32 s20, s20, s22
	s_subb_u32 s21, s21, s23
	s_add_u32 s18, s18, s22
	s_addc_u32 s19, s19, s23
	s_cmp_lg_u64 s[20:21], 0
	s_cbranch_scc0 .LBB1_200
.LBB1_119:                              ;   Parent Loop BB1_5 Depth=1
                                        ; =>  This Loop Header: Depth=2
                                        ;       Child Loop BB1_122 Depth 3
                                        ;       Child Loop BB1_129 Depth 3
	;; [unrolled: 1-line block ×11, first 2 shown]
	v_cmp_lt_u64_e64 s[2:3], s[20:21], 56
	s_and_b64 s[2:3], s[2:3], exec
	v_cmp_gt_u64_e64 s[2:3], s[20:21], 7
	s_cselect_b32 s23, s21, 0
	s_cselect_b32 s22, s20, 56
	s_and_b64 vcc, exec, s[2:3]
	s_cbranch_vccnz .LBB1_124
; %bb.120:                              ;   in Loop: Header=BB1_119 Depth=2
	s_mov_b64 s[2:3], 0
	s_cmp_eq_u64 s[20:21], 0
	s_waitcnt vmcnt(0)
	v_pk_mov_b32 v[20:21], 0, 0
	s_cbranch_scc1 .LBB1_123
; %bb.121:                              ;   in Loop: Header=BB1_119 Depth=2
	s_lshl_b64 s[24:25], s[22:23], 3
	s_mov_b64 s[26:27], 0
	v_pk_mov_b32 v[20:21], 0, 0
	s_mov_b64 s[28:29], s[18:19]
.LBB1_122:                              ;   Parent Loop BB1_5 Depth=1
                                        ;     Parent Loop BB1_119 Depth=2
                                        ; =>    This Inner Loop Header: Depth=3
	global_load_ubyte v0, v3, s[28:29]
	s_waitcnt vmcnt(0)
	v_and_b32_e32 v2, 0xffff, v0
	v_lshlrev_b64 v[0:1], s26, v[2:3]
	s_add_u32 s26, s26, 8
	s_addc_u32 s27, s27, 0
	s_add_u32 s28, s28, 1
	s_addc_u32 s29, s29, 0
	v_or_b32_e32 v20, v0, v20
	s_cmp_lg_u32 s24, s26
	v_or_b32_e32 v21, v1, v21
	s_cbranch_scc1 .LBB1_122
.LBB1_123:                              ;   in Loop: Header=BB1_119 Depth=2
	s_mov_b32 s28, 0
	s_andn2_b64 vcc, exec, s[2:3]
	s_mov_b64 s[2:3], s[18:19]
	s_cbranch_vccz .LBB1_125
	s_branch .LBB1_126
.LBB1_124:                              ;   in Loop: Header=BB1_119 Depth=2
                                        ; implicit-def: $sgpr28
	s_mov_b64 s[2:3], s[18:19]
.LBB1_125:                              ;   in Loop: Header=BB1_119 Depth=2
	global_load_dwordx2 v[20:21], v3, s[18:19]
	s_add_i32 s28, s22, -8
	s_add_u32 s2, s18, 8
	s_addc_u32 s3, s19, 0
.LBB1_126:                              ;   in Loop: Header=BB1_119 Depth=2
	s_cmp_gt_u32 s28, 7
	s_cbranch_scc1 .LBB1_130
; %bb.127:                              ;   in Loop: Header=BB1_119 Depth=2
	s_cmp_eq_u32 s28, 0
	s_cbranch_scc1 .LBB1_131
; %bb.128:                              ;   in Loop: Header=BB1_119 Depth=2
	s_mov_b64 s[24:25], 0
	v_pk_mov_b32 v[22:23], 0, 0
	s_mov_b64 s[26:27], 0
.LBB1_129:                              ;   Parent Loop BB1_5 Depth=1
                                        ;     Parent Loop BB1_119 Depth=2
                                        ; =>    This Inner Loop Header: Depth=3
	s_add_u32 s30, s2, s26
	s_addc_u32 s31, s3, s27
	global_load_ubyte v0, v3, s[30:31]
	s_add_u32 s26, s26, 1
	s_addc_u32 s27, s27, 0
	s_waitcnt vmcnt(0)
	v_and_b32_e32 v2, 0xffff, v0
	v_lshlrev_b64 v[0:1], s24, v[2:3]
	s_add_u32 s24, s24, 8
	s_addc_u32 s25, s25, 0
	v_or_b32_e32 v22, v0, v22
	s_cmp_lg_u32 s28, s26
	v_or_b32_e32 v23, v1, v23
	s_cbranch_scc1 .LBB1_129
	s_branch .LBB1_132
.LBB1_130:                              ;   in Loop: Header=BB1_119 Depth=2
                                        ; implicit-def: $vgpr22_vgpr23
                                        ; implicit-def: $sgpr29
	s_branch .LBB1_133
.LBB1_131:                              ;   in Loop: Header=BB1_119 Depth=2
	v_pk_mov_b32 v[22:23], 0, 0
.LBB1_132:                              ;   in Loop: Header=BB1_119 Depth=2
	s_mov_b32 s29, 0
	s_cbranch_execnz .LBB1_134
.LBB1_133:                              ;   in Loop: Header=BB1_119 Depth=2
	global_load_dwordx2 v[22:23], v3, s[2:3]
	s_add_i32 s29, s28, -8
	s_add_u32 s2, s2, 8
	s_addc_u32 s3, s3, 0
.LBB1_134:                              ;   in Loop: Header=BB1_119 Depth=2
	s_cmp_gt_u32 s29, 7
	s_cbranch_scc1 .LBB1_138
; %bb.135:                              ;   in Loop: Header=BB1_119 Depth=2
	s_cmp_eq_u32 s29, 0
	s_cbranch_scc1 .LBB1_139
; %bb.136:                              ;   in Loop: Header=BB1_119 Depth=2
	s_mov_b64 s[24:25], 0
	v_pk_mov_b32 v[24:25], 0, 0
	s_mov_b64 s[26:27], 0
.LBB1_137:                              ;   Parent Loop BB1_5 Depth=1
                                        ;     Parent Loop BB1_119 Depth=2
                                        ; =>    This Inner Loop Header: Depth=3
	s_add_u32 s30, s2, s26
	s_addc_u32 s31, s3, s27
	global_load_ubyte v0, v3, s[30:31]
	s_add_u32 s26, s26, 1
	s_addc_u32 s27, s27, 0
	s_waitcnt vmcnt(0)
	v_and_b32_e32 v2, 0xffff, v0
	v_lshlrev_b64 v[0:1], s24, v[2:3]
	s_add_u32 s24, s24, 8
	s_addc_u32 s25, s25, 0
	v_or_b32_e32 v24, v0, v24
	s_cmp_lg_u32 s29, s26
	v_or_b32_e32 v25, v1, v25
	s_cbranch_scc1 .LBB1_137
	s_branch .LBB1_140
.LBB1_138:                              ;   in Loop: Header=BB1_119 Depth=2
                                        ; implicit-def: $sgpr28
	s_branch .LBB1_141
.LBB1_139:                              ;   in Loop: Header=BB1_119 Depth=2
	v_pk_mov_b32 v[24:25], 0, 0
.LBB1_140:                              ;   in Loop: Header=BB1_119 Depth=2
	s_mov_b32 s28, 0
	s_cbranch_execnz .LBB1_142
.LBB1_141:                              ;   in Loop: Header=BB1_119 Depth=2
	global_load_dwordx2 v[24:25], v3, s[2:3]
	s_add_i32 s28, s29, -8
	s_add_u32 s2, s2, 8
	s_addc_u32 s3, s3, 0
.LBB1_142:                              ;   in Loop: Header=BB1_119 Depth=2
	s_cmp_gt_u32 s28, 7
	s_cbranch_scc1 .LBB1_146
; %bb.143:                              ;   in Loop: Header=BB1_119 Depth=2
	s_cmp_eq_u32 s28, 0
	s_cbranch_scc1 .LBB1_147
; %bb.144:                              ;   in Loop: Header=BB1_119 Depth=2
	s_mov_b64 s[24:25], 0
	v_pk_mov_b32 v[26:27], 0, 0
	s_mov_b64 s[26:27], 0
.LBB1_145:                              ;   Parent Loop BB1_5 Depth=1
                                        ;     Parent Loop BB1_119 Depth=2
                                        ; =>    This Inner Loop Header: Depth=3
	s_add_u32 s30, s2, s26
	s_addc_u32 s31, s3, s27
	global_load_ubyte v0, v3, s[30:31]
	s_add_u32 s26, s26, 1
	s_addc_u32 s27, s27, 0
	s_waitcnt vmcnt(0)
	v_and_b32_e32 v2, 0xffff, v0
	v_lshlrev_b64 v[0:1], s24, v[2:3]
	s_add_u32 s24, s24, 8
	s_addc_u32 s25, s25, 0
	v_or_b32_e32 v26, v0, v26
	s_cmp_lg_u32 s28, s26
	v_or_b32_e32 v27, v1, v27
	s_cbranch_scc1 .LBB1_145
	s_branch .LBB1_148
.LBB1_146:                              ;   in Loop: Header=BB1_119 Depth=2
                                        ; implicit-def: $vgpr26_vgpr27
                                        ; implicit-def: $sgpr29
	s_branch .LBB1_149
.LBB1_147:                              ;   in Loop: Header=BB1_119 Depth=2
	v_pk_mov_b32 v[26:27], 0, 0
.LBB1_148:                              ;   in Loop: Header=BB1_119 Depth=2
	s_mov_b32 s29, 0
	s_cbranch_execnz .LBB1_150
.LBB1_149:                              ;   in Loop: Header=BB1_119 Depth=2
	global_load_dwordx2 v[26:27], v3, s[2:3]
	s_add_i32 s29, s28, -8
	s_add_u32 s2, s2, 8
	s_addc_u32 s3, s3, 0
.LBB1_150:                              ;   in Loop: Header=BB1_119 Depth=2
	s_cmp_gt_u32 s29, 7
	s_cbranch_scc1 .LBB1_154
; %bb.151:                              ;   in Loop: Header=BB1_119 Depth=2
	s_cmp_eq_u32 s29, 0
	s_cbranch_scc1 .LBB1_155
; %bb.152:                              ;   in Loop: Header=BB1_119 Depth=2
	s_mov_b64 s[24:25], 0
	v_pk_mov_b32 v[28:29], 0, 0
	s_mov_b64 s[26:27], 0
.LBB1_153:                              ;   Parent Loop BB1_5 Depth=1
                                        ;     Parent Loop BB1_119 Depth=2
                                        ; =>    This Inner Loop Header: Depth=3
	s_add_u32 s30, s2, s26
	s_addc_u32 s31, s3, s27
	global_load_ubyte v0, v3, s[30:31]
	s_add_u32 s26, s26, 1
	s_addc_u32 s27, s27, 0
	s_waitcnt vmcnt(0)
	v_and_b32_e32 v2, 0xffff, v0
	v_lshlrev_b64 v[0:1], s24, v[2:3]
	s_add_u32 s24, s24, 8
	s_addc_u32 s25, s25, 0
	v_or_b32_e32 v28, v0, v28
	s_cmp_lg_u32 s29, s26
	v_or_b32_e32 v29, v1, v29
	s_cbranch_scc1 .LBB1_153
	s_branch .LBB1_156
.LBB1_154:                              ;   in Loop: Header=BB1_119 Depth=2
                                        ; implicit-def: $sgpr28
	s_branch .LBB1_157
.LBB1_155:                              ;   in Loop: Header=BB1_119 Depth=2
	v_pk_mov_b32 v[28:29], 0, 0
.LBB1_156:                              ;   in Loop: Header=BB1_119 Depth=2
	s_mov_b32 s28, 0
	s_cbranch_execnz .LBB1_158
.LBB1_157:                              ;   in Loop: Header=BB1_119 Depth=2
	global_load_dwordx2 v[28:29], v3, s[2:3]
	s_add_i32 s28, s29, -8
	s_add_u32 s2, s2, 8
	s_addc_u32 s3, s3, 0
.LBB1_158:                              ;   in Loop: Header=BB1_119 Depth=2
	s_cmp_gt_u32 s28, 7
	s_cbranch_scc1 .LBB1_162
; %bb.159:                              ;   in Loop: Header=BB1_119 Depth=2
	s_cmp_eq_u32 s28, 0
	s_cbranch_scc1 .LBB1_163
; %bb.160:                              ;   in Loop: Header=BB1_119 Depth=2
	s_mov_b64 s[24:25], 0
	v_pk_mov_b32 v[30:31], 0, 0
	s_mov_b64 s[26:27], 0
.LBB1_161:                              ;   Parent Loop BB1_5 Depth=1
                                        ;     Parent Loop BB1_119 Depth=2
                                        ; =>    This Inner Loop Header: Depth=3
	s_add_u32 s30, s2, s26
	s_addc_u32 s31, s3, s27
	global_load_ubyte v0, v3, s[30:31]
	s_add_u32 s26, s26, 1
	s_addc_u32 s27, s27, 0
	s_waitcnt vmcnt(0)
	v_and_b32_e32 v2, 0xffff, v0
	v_lshlrev_b64 v[0:1], s24, v[2:3]
	s_add_u32 s24, s24, 8
	s_addc_u32 s25, s25, 0
	v_or_b32_e32 v30, v0, v30
	s_cmp_lg_u32 s28, s26
	v_or_b32_e32 v31, v1, v31
	s_cbranch_scc1 .LBB1_161
	s_branch .LBB1_164
.LBB1_162:                              ;   in Loop: Header=BB1_119 Depth=2
                                        ; implicit-def: $vgpr30_vgpr31
                                        ; implicit-def: $sgpr29
	s_branch .LBB1_165
.LBB1_163:                              ;   in Loop: Header=BB1_119 Depth=2
	v_pk_mov_b32 v[30:31], 0, 0
.LBB1_164:                              ;   in Loop: Header=BB1_119 Depth=2
	s_mov_b32 s29, 0
	s_cbranch_execnz .LBB1_166
.LBB1_165:                              ;   in Loop: Header=BB1_119 Depth=2
	global_load_dwordx2 v[30:31], v3, s[2:3]
	s_add_i32 s29, s28, -8
	s_add_u32 s2, s2, 8
	s_addc_u32 s3, s3, 0
.LBB1_166:                              ;   in Loop: Header=BB1_119 Depth=2
	s_cmp_gt_u32 s29, 7
	s_cbranch_scc1 .LBB1_170
; %bb.167:                              ;   in Loop: Header=BB1_119 Depth=2
	s_cmp_eq_u32 s29, 0
	s_cbranch_scc1 .LBB1_171
; %bb.168:                              ;   in Loop: Header=BB1_119 Depth=2
	s_mov_b64 s[24:25], 0
	v_pk_mov_b32 v[32:33], 0, 0
	s_mov_b64 s[26:27], s[2:3]
.LBB1_169:                              ;   Parent Loop BB1_5 Depth=1
                                        ;     Parent Loop BB1_119 Depth=2
                                        ; =>    This Inner Loop Header: Depth=3
	global_load_ubyte v0, v3, s[26:27]
	s_add_i32 s29, s29, -1
	s_waitcnt vmcnt(0)
	v_and_b32_e32 v2, 0xffff, v0
	v_lshlrev_b64 v[0:1], s24, v[2:3]
	s_add_u32 s24, s24, 8
	s_addc_u32 s25, s25, 0
	s_add_u32 s26, s26, 1
	s_addc_u32 s27, s27, 0
	v_or_b32_e32 v32, v0, v32
	s_cmp_lg_u32 s29, 0
	v_or_b32_e32 v33, v1, v33
	s_cbranch_scc1 .LBB1_169
	s_branch .LBB1_172
.LBB1_170:                              ;   in Loop: Header=BB1_119 Depth=2
	s_branch .LBB1_173
.LBB1_171:                              ;   in Loop: Header=BB1_119 Depth=2
	v_pk_mov_b32 v[32:33], 0, 0
.LBB1_172:                              ;   in Loop: Header=BB1_119 Depth=2
	s_cbranch_execnz .LBB1_174
.LBB1_173:                              ;   in Loop: Header=BB1_119 Depth=2
	global_load_dwordx2 v[32:33], v3, s[2:3]
.LBB1_174:                              ;   in Loop: Header=BB1_119 Depth=2
	v_readfirstlane_b32 s2, v38
	v_cmp_eq_u32_e64 s[2:3], s2, v38
	v_pk_mov_b32 v[0:1], 0, 0
	s_and_saveexec_b64 s[24:25], s[2:3]
	s_cbranch_execz .LBB1_180
; %bb.175:                              ;   in Loop: Header=BB1_119 Depth=2
	global_load_dwordx2 v[36:37], v3, s[12:13] offset:24 glc
	s_waitcnt vmcnt(0)
	buffer_invl2
	buffer_wbinvl1_vol
	global_load_dwordx2 v[0:1], v3, s[12:13] offset:40
	global_load_dwordx2 v[4:5], v3, s[12:13]
	s_waitcnt vmcnt(1)
	v_and_b32_e32 v0, v0, v36
	v_and_b32_e32 v1, v1, v37
	v_mul_lo_u32 v1, v1, 24
	v_mul_hi_u32 v2, v0, 24
	v_mul_lo_u32 v0, v0, 24
	v_add_u32_e32 v1, v2, v1
	s_waitcnt vmcnt(0)
	v_add_co_u32_e32 v0, vcc, v4, v0
	v_addc_co_u32_e32 v1, vcc, v5, v1, vcc
	global_load_dwordx2 v[34:35], v[0:1], off glc
	s_waitcnt vmcnt(0)
	global_atomic_cmpswap_x2 v[0:1], v3, v[34:37], s[12:13] offset:24 glc
	s_waitcnt vmcnt(0)
	buffer_invl2
	buffer_wbinvl1_vol
	v_cmp_ne_u64_e32 vcc, v[0:1], v[36:37]
	s_and_saveexec_b64 s[26:27], vcc
	s_cbranch_execz .LBB1_179
; %bb.176:                              ;   in Loop: Header=BB1_119 Depth=2
	s_mov_b64 s[28:29], 0
.LBB1_177:                              ;   Parent Loop BB1_5 Depth=1
                                        ;     Parent Loop BB1_119 Depth=2
                                        ; =>    This Inner Loop Header: Depth=3
	s_sleep 1
	global_load_dwordx2 v[4:5], v3, s[12:13] offset:40
	global_load_dwordx2 v[34:35], v3, s[12:13]
	v_pk_mov_b32 v[36:37], v[0:1], v[0:1] op_sel:[0,1]
	s_waitcnt vmcnt(1)
	v_and_b32_e32 v0, v4, v36
	s_waitcnt vmcnt(0)
	v_mad_u64_u32 v[0:1], s[30:31], v0, 24, v[34:35]
	v_and_b32_e32 v5, v5, v37
	v_mov_b32_e32 v2, v1
	v_mad_u64_u32 v[4:5], s[30:31], v5, 24, v[2:3]
	v_mov_b32_e32 v1, v4
	global_load_dwordx2 v[34:35], v[0:1], off glc
	s_waitcnt vmcnt(0)
	global_atomic_cmpswap_x2 v[0:1], v3, v[34:37], s[12:13] offset:24 glc
	s_waitcnt vmcnt(0)
	buffer_invl2
	buffer_wbinvl1_vol
	v_cmp_eq_u64_e32 vcc, v[0:1], v[36:37]
	s_or_b64 s[28:29], vcc, s[28:29]
	s_andn2_b64 exec, exec, s[28:29]
	s_cbranch_execnz .LBB1_177
; %bb.178:                              ;   in Loop: Header=BB1_119 Depth=2
	s_or_b64 exec, exec, s[28:29]
.LBB1_179:                              ;   in Loop: Header=BB1_119 Depth=2
	s_or_b64 exec, exec, s[26:27]
.LBB1_180:                              ;   in Loop: Header=BB1_119 Depth=2
	s_or_b64 exec, exec, s[24:25]
	global_load_dwordx2 v[4:5], v3, s[12:13] offset:40
	global_load_dwordx4 v[34:37], v3, s[12:13]
	v_readfirstlane_b32 s24, v0
	v_readfirstlane_b32 s25, v1
	s_mov_b64 s[26:27], exec
	s_waitcnt vmcnt(1)
	v_readfirstlane_b32 s28, v4
	v_readfirstlane_b32 s29, v5
	s_and_b64 s[28:29], s[24:25], s[28:29]
	s_mul_i32 s30, s29, 24
	s_mul_hi_u32 s31, s28, 24
	s_mul_i32 s37, s28, 24
	s_add_i32 s30, s31, s30
	v_mov_b32_e32 v1, s30
	s_waitcnt vmcnt(0)
	v_add_co_u32_e32 v0, vcc, s37, v34
	v_addc_co_u32_e32 v1, vcc, v35, v1, vcc
	s_and_saveexec_b64 s[30:31], s[2:3]
	s_cbranch_execz .LBB1_182
; %bb.181:                              ;   in Loop: Header=BB1_119 Depth=2
	v_pk_mov_b32 v[4:5], s[26:27], s[26:27] op_sel:[0,1]
	global_store_dwordx4 v[0:1], v[4:7], off offset:8
.LBB1_182:                              ;   in Loop: Header=BB1_119 Depth=2
	s_or_b64 exec, exec, s[30:31]
	s_lshl_b64 s[26:27], s[28:29], 12
	v_mov_b32_e32 v2, s27
	v_add_co_u32_e32 v4, vcc, s26, v36
	v_addc_co_u32_e32 v5, vcc, v37, v2, vcc
	v_or_b32_e32 v2, 2, v18
	v_cmp_gt_u64_e64 vcc, s[20:21], 56
	s_lshl_b32 s26, s22, 2
	v_cndmask_b32_e32 v2, v2, v18, vcc
	s_add_i32 s26, s26, 28
	s_and_b32 s26, s26, 0x1e0
	v_and_b32_e32 v2, 0xffffff1f, v2
	v_or_b32_e32 v18, s26, v2
	v_readfirstlane_b32 s26, v4
	v_readfirstlane_b32 s27, v5
	s_nop 4
	global_store_dwordx4 v39, v[18:21], s[26:27]
	global_store_dwordx4 v39, v[22:25], s[26:27] offset:16
	global_store_dwordx4 v39, v[26:29], s[26:27] offset:32
	global_store_dwordx4 v39, v[30:33], s[26:27] offset:48
	s_and_saveexec_b64 s[26:27], s[2:3]
	s_cbranch_execz .LBB1_190
; %bb.183:                              ;   in Loop: Header=BB1_119 Depth=2
	global_load_dwordx2 v[26:27], v3, s[12:13] offset:32 glc
	global_load_dwordx2 v[18:19], v3, s[12:13] offset:40
	v_mov_b32_e32 v24, s24
	v_mov_b32_e32 v25, s25
	s_waitcnt vmcnt(0)
	v_readfirstlane_b32 s28, v18
	v_readfirstlane_b32 s29, v19
	s_and_b64 s[28:29], s[28:29], s[24:25]
	s_mul_i32 s29, s29, 24
	s_mul_hi_u32 s30, s28, 24
	s_mul_i32 s28, s28, 24
	s_add_i32 s29, s30, s29
	v_mov_b32_e32 v2, s29
	v_add_co_u32_e32 v22, vcc, s28, v34
	v_addc_co_u32_e32 v23, vcc, v35, v2, vcc
	global_store_dwordx2 v[22:23], v[26:27], off
	buffer_wbl2
	s_waitcnt vmcnt(0)
	global_atomic_cmpswap_x2 v[20:21], v3, v[24:27], s[12:13] offset:32 glc
	s_waitcnt vmcnt(0)
	v_cmp_ne_u64_e32 vcc, v[20:21], v[26:27]
	s_and_saveexec_b64 s[28:29], vcc
	s_cbranch_execz .LBB1_186
; %bb.184:                              ;   in Loop: Header=BB1_119 Depth=2
	s_mov_b64 s[30:31], 0
.LBB1_185:                              ;   Parent Loop BB1_5 Depth=1
                                        ;     Parent Loop BB1_119 Depth=2
                                        ; =>    This Inner Loop Header: Depth=3
	s_sleep 1
	global_store_dwordx2 v[22:23], v[20:21], off
	v_mov_b32_e32 v18, s24
	v_mov_b32_e32 v19, s25
	buffer_wbl2
	s_waitcnt vmcnt(0)
	global_atomic_cmpswap_x2 v[18:19], v3, v[18:21], s[12:13] offset:32 glc
	s_waitcnt vmcnt(0)
	v_cmp_eq_u64_e32 vcc, v[18:19], v[20:21]
	s_or_b64 s[30:31], vcc, s[30:31]
	v_pk_mov_b32 v[20:21], v[18:19], v[18:19] op_sel:[0,1]
	s_andn2_b64 exec, exec, s[30:31]
	s_cbranch_execnz .LBB1_185
.LBB1_186:                              ;   in Loop: Header=BB1_119 Depth=2
	s_or_b64 exec, exec, s[28:29]
	global_load_dwordx2 v[18:19], v3, s[12:13] offset:16
	s_mov_b64 s[30:31], exec
	v_mbcnt_lo_u32_b32 v2, s30, 0
	v_mbcnt_hi_u32_b32 v2, s31, v2
	v_cmp_eq_u32_e32 vcc, 0, v2
	s_and_saveexec_b64 s[28:29], vcc
	s_cbranch_execz .LBB1_188
; %bb.187:                              ;   in Loop: Header=BB1_119 Depth=2
	s_bcnt1_i32_b64 s30, s[30:31]
	v_mov_b32_e32 v2, s30
	buffer_wbl2
	s_waitcnt vmcnt(0)
	global_atomic_add_x2 v[18:19], v[2:3], off offset:8
.LBB1_188:                              ;   in Loop: Header=BB1_119 Depth=2
	s_or_b64 exec, exec, s[28:29]
	s_waitcnt vmcnt(0)
	global_load_dwordx2 v[20:21], v[18:19], off offset:16
	s_waitcnt vmcnt(0)
	v_cmp_eq_u64_e32 vcc, 0, v[20:21]
	s_cbranch_vccnz .LBB1_190
; %bb.189:                              ;   in Loop: Header=BB1_119 Depth=2
	global_load_dword v2, v[18:19], off offset:24
	buffer_wbl2
	s_waitcnt vmcnt(0)
	global_store_dwordx2 v[20:21], v[2:3], off
	v_and_b32_e32 v2, 0xffffff, v2
	v_readfirstlane_b32 m0, v2
	s_sendmsg sendmsg(MSG_INTERRUPT)
.LBB1_190:                              ;   in Loop: Header=BB1_119 Depth=2
	s_or_b64 exec, exec, s[26:27]
	v_add_co_u32_e32 v4, vcc, v4, v39
	v_addc_co_u32_e32 v5, vcc, 0, v5, vcc
	s_branch .LBB1_194
.LBB1_191:                              ;   in Loop: Header=BB1_194 Depth=3
	s_or_b64 exec, exec, s[26:27]
	v_readfirstlane_b32 s26, v2
	s_cmp_eq_u32 s26, 0
	s_cbranch_scc1 .LBB1_193
; %bb.192:                              ;   in Loop: Header=BB1_194 Depth=3
	s_sleep 1
	s_cbranch_execnz .LBB1_194
	s_branch .LBB1_196
.LBB1_193:                              ;   in Loop: Header=BB1_119 Depth=2
	s_branch .LBB1_196
.LBB1_194:                              ;   Parent Loop BB1_5 Depth=1
                                        ;     Parent Loop BB1_119 Depth=2
                                        ; =>    This Inner Loop Header: Depth=3
	v_mov_b32_e32 v2, 1
	s_and_saveexec_b64 s[26:27], s[2:3]
	s_cbranch_execz .LBB1_191
; %bb.195:                              ;   in Loop: Header=BB1_194 Depth=3
	global_load_dword v2, v[0:1], off offset:20 glc
	s_waitcnt vmcnt(0)
	buffer_invl2
	buffer_wbinvl1_vol
	v_and_b32_e32 v2, 1, v2
	s_branch .LBB1_191
.LBB1_196:                              ;   in Loop: Header=BB1_119 Depth=2
	global_load_dwordx4 v[18:21], v[4:5], off
	s_and_saveexec_b64 s[26:27], s[2:3]
	s_cbranch_execz .LBB1_118
; %bb.197:                              ;   in Loop: Header=BB1_119 Depth=2
	global_load_dwordx2 v[0:1], v3, s[12:13] offset:40
	global_load_dwordx2 v[4:5], v3, s[12:13] offset:24 glc
	global_load_dwordx2 v[24:25], v3, s[12:13]
	v_mov_b32_e32 v2, s25
	s_waitcnt vmcnt(2)
	v_add_co_u32_e32 v23, vcc, 1, v0
	v_addc_co_u32_e32 v26, vcc, 0, v1, vcc
	v_add_co_u32_e32 v20, vcc, s24, v23
	v_addc_co_u32_e32 v21, vcc, v26, v2, vcc
	v_cmp_eq_u64_e32 vcc, 0, v[20:21]
	v_cndmask_b32_e32 v21, v21, v26, vcc
	v_cndmask_b32_e32 v20, v20, v23, vcc
	v_and_b32_e32 v1, v21, v1
	v_and_b32_e32 v0, v20, v0
	v_mul_lo_u32 v1, v1, 24
	v_mul_hi_u32 v2, v0, 24
	v_mul_lo_u32 v0, v0, 24
	v_add_u32_e32 v1, v2, v1
	s_waitcnt vmcnt(0)
	v_add_co_u32_e32 v0, vcc, v24, v0
	v_addc_co_u32_e32 v1, vcc, v25, v1, vcc
	v_mov_b32_e32 v22, v4
	global_store_dwordx2 v[0:1], v[4:5], off
	v_mov_b32_e32 v23, v5
	buffer_wbl2
	s_waitcnt vmcnt(0)
	global_atomic_cmpswap_x2 v[22:23], v3, v[20:23], s[12:13] offset:24 glc
	s_waitcnt vmcnt(0)
	v_cmp_ne_u64_e32 vcc, v[22:23], v[4:5]
	s_and_b64 exec, exec, vcc
	s_cbranch_execz .LBB1_118
; %bb.198:                              ;   in Loop: Header=BB1_119 Depth=2
	s_mov_b64 s[2:3], 0
.LBB1_199:                              ;   Parent Loop BB1_5 Depth=1
                                        ;     Parent Loop BB1_119 Depth=2
                                        ; =>    This Inner Loop Header: Depth=3
	s_sleep 1
	global_store_dwordx2 v[0:1], v[22:23], off
	buffer_wbl2
	s_waitcnt vmcnt(0)
	global_atomic_cmpswap_x2 v[4:5], v3, v[20:23], s[12:13] offset:24 glc
	s_waitcnt vmcnt(0)
	v_cmp_eq_u64_e32 vcc, v[4:5], v[22:23]
	s_or_b64 s[2:3], vcc, s[2:3]
	v_pk_mov_b32 v[22:23], v[4:5], v[4:5] op_sel:[0,1]
	s_andn2_b64 exec, exec, s[2:3]
	s_cbranch_execnz .LBB1_199
	s_branch .LBB1_118
.LBB1_200:                              ;   in Loop: Header=BB1_5 Depth=1
	s_branch .LBB1_4
.LBB1_201:                              ;   in Loop: Header=BB1_5 Depth=1
                                        ; implicit-def: $vgpr16_vgpr17
	s_cbranch_execz .LBB1_116
; %bb.202:                              ;   in Loop: Header=BB1_5 Depth=1
	v_readfirstlane_b32 s2, v38
	v_cmp_eq_u32_e64 s[2:3], s2, v38
	v_pk_mov_b32 v[4:5], 0, 0
	s_and_saveexec_b64 s[18:19], s[2:3]
	s_cbranch_execz .LBB1_208
; %bb.203:                              ;   in Loop: Header=BB1_5 Depth=1
	global_load_dwordx2 v[18:19], v3, s[12:13] offset:24 glc
	s_waitcnt vmcnt(0)
	buffer_invl2
	buffer_wbinvl1_vol
	global_load_dwordx2 v[4:5], v3, s[12:13] offset:40
	global_load_dwordx2 v[16:17], v3, s[12:13]
	s_waitcnt vmcnt(1)
	v_and_b32_e32 v2, v4, v18
	v_and_b32_e32 v4, v5, v19
	v_mul_lo_u32 v4, v4, 24
	v_mul_hi_u32 v5, v2, 24
	v_mul_lo_u32 v2, v2, 24
	v_add_u32_e32 v5, v5, v4
	s_waitcnt vmcnt(0)
	v_add_co_u32_e32 v4, vcc, v16, v2
	v_addc_co_u32_e32 v5, vcc, v17, v5, vcc
	global_load_dwordx2 v[16:17], v[4:5], off glc
	s_waitcnt vmcnt(0)
	global_atomic_cmpswap_x2 v[4:5], v3, v[16:19], s[12:13] offset:24 glc
	s_waitcnt vmcnt(0)
	buffer_invl2
	buffer_wbinvl1_vol
	v_cmp_ne_u64_e32 vcc, v[4:5], v[18:19]
	s_and_saveexec_b64 s[20:21], vcc
	s_cbranch_execz .LBB1_207
; %bb.204:                              ;   in Loop: Header=BB1_5 Depth=1
	s_mov_b64 s[22:23], 0
.LBB1_205:                              ;   Parent Loop BB1_5 Depth=1
                                        ; =>  This Inner Loop Header: Depth=2
	s_sleep 1
	global_load_dwordx2 v[16:17], v3, s[12:13] offset:40
	global_load_dwordx2 v[20:21], v3, s[12:13]
	v_pk_mov_b32 v[18:19], v[4:5], v[4:5] op_sel:[0,1]
	s_waitcnt vmcnt(1)
	v_and_b32_e32 v2, v16, v18
	s_waitcnt vmcnt(0)
	v_mad_u64_u32 v[4:5], s[24:25], v2, 24, v[20:21]
	v_and_b32_e32 v17, v17, v19
	v_mov_b32_e32 v2, v5
	v_mad_u64_u32 v[16:17], s[24:25], v17, 24, v[2:3]
	v_mov_b32_e32 v5, v16
	global_load_dwordx2 v[16:17], v[4:5], off glc
	s_waitcnt vmcnt(0)
	global_atomic_cmpswap_x2 v[4:5], v3, v[16:19], s[12:13] offset:24 glc
	s_waitcnt vmcnt(0)
	buffer_invl2
	buffer_wbinvl1_vol
	v_cmp_eq_u64_e32 vcc, v[4:5], v[18:19]
	s_or_b64 s[22:23], vcc, s[22:23]
	s_andn2_b64 exec, exec, s[22:23]
	s_cbranch_execnz .LBB1_205
; %bb.206:                              ;   in Loop: Header=BB1_5 Depth=1
	s_or_b64 exec, exec, s[22:23]
.LBB1_207:                              ;   in Loop: Header=BB1_5 Depth=1
	s_or_b64 exec, exec, s[20:21]
.LBB1_208:                              ;   in Loop: Header=BB1_5 Depth=1
	s_or_b64 exec, exec, s[18:19]
	global_load_dwordx2 v[20:21], v3, s[12:13] offset:40
	global_load_dwordx4 v[16:19], v3, s[12:13]
	v_readfirstlane_b32 s18, v4
	v_readfirstlane_b32 s19, v5
	s_mov_b64 s[20:21], exec
	s_waitcnt vmcnt(1)
	v_readfirstlane_b32 s22, v20
	v_readfirstlane_b32 s23, v21
	s_and_b64 s[22:23], s[18:19], s[22:23]
	s_mul_i32 s24, s23, 24
	s_mul_hi_u32 s25, s22, 24
	s_mul_i32 s26, s22, 24
	s_add_i32 s24, s25, s24
	v_mov_b32_e32 v2, s24
	s_waitcnt vmcnt(0)
	v_add_co_u32_e32 v20, vcc, s26, v16
	v_addc_co_u32_e32 v21, vcc, v17, v2, vcc
	s_and_saveexec_b64 s[24:25], s[2:3]
	s_cbranch_execz .LBB1_210
; %bb.209:                              ;   in Loop: Header=BB1_5 Depth=1
	v_pk_mov_b32 v[4:5], s[20:21], s[20:21] op_sel:[0,1]
	global_store_dwordx4 v[20:21], v[4:7], off offset:8
.LBB1_210:                              ;   in Loop: Header=BB1_5 Depth=1
	s_or_b64 exec, exec, s[24:25]
	s_lshl_b64 s[20:21], s[22:23], 12
	v_mov_b32_e32 v2, s21
	v_add_co_u32_e32 v4, vcc, s20, v18
	v_addc_co_u32_e32 v5, vcc, v19, v2, vcc
	v_pk_mov_b32 v[24:25], s[6:7], s[6:7] op_sel:[0,1]
	v_and_or_b32 v0, v0, s34, 32
	v_mov_b32_e32 v2, v3
	v_readfirstlane_b32 s20, v4
	v_readfirstlane_b32 s21, v5
	v_pk_mov_b32 v[22:23], s[4:5], s[4:5] op_sel:[0,1]
	s_nop 3
	global_store_dwordx4 v39, v[0:3], s[20:21]
	global_store_dwordx4 v39, v[22:25], s[20:21] offset:16
	global_store_dwordx4 v39, v[22:25], s[20:21] offset:32
	;; [unrolled: 1-line block ×3, first 2 shown]
	s_and_saveexec_b64 s[20:21], s[2:3]
	s_cbranch_execz .LBB1_218
; %bb.211:                              ;   in Loop: Header=BB1_5 Depth=1
	global_load_dwordx2 v[24:25], v3, s[12:13] offset:32 glc
	global_load_dwordx2 v[0:1], v3, s[12:13] offset:40
	v_mov_b32_e32 v22, s18
	v_mov_b32_e32 v23, s19
	s_waitcnt vmcnt(0)
	v_readfirstlane_b32 s22, v0
	v_readfirstlane_b32 s23, v1
	s_and_b64 s[22:23], s[22:23], s[18:19]
	s_mul_i32 s23, s23, 24
	s_mul_hi_u32 s24, s22, 24
	s_mul_i32 s22, s22, 24
	s_add_i32 s23, s24, s23
	v_mov_b32_e32 v1, s23
	v_add_co_u32_e32 v0, vcc, s22, v16
	v_addc_co_u32_e32 v1, vcc, v17, v1, vcc
	global_store_dwordx2 v[0:1], v[24:25], off
	buffer_wbl2
	s_waitcnt vmcnt(0)
	global_atomic_cmpswap_x2 v[18:19], v3, v[22:25], s[12:13] offset:32 glc
	s_waitcnt vmcnt(0)
	v_cmp_ne_u64_e32 vcc, v[18:19], v[24:25]
	s_and_saveexec_b64 s[22:23], vcc
	s_cbranch_execz .LBB1_214
; %bb.212:                              ;   in Loop: Header=BB1_5 Depth=1
	s_mov_b64 s[24:25], 0
.LBB1_213:                              ;   Parent Loop BB1_5 Depth=1
                                        ; =>  This Inner Loop Header: Depth=2
	s_sleep 1
	global_store_dwordx2 v[0:1], v[18:19], off
	v_mov_b32_e32 v16, s18
	v_mov_b32_e32 v17, s19
	buffer_wbl2
	s_waitcnt vmcnt(0)
	global_atomic_cmpswap_x2 v[16:17], v3, v[16:19], s[12:13] offset:32 glc
	s_waitcnt vmcnt(0)
	v_cmp_eq_u64_e32 vcc, v[16:17], v[18:19]
	s_or_b64 s[24:25], vcc, s[24:25]
	v_pk_mov_b32 v[18:19], v[16:17], v[16:17] op_sel:[0,1]
	s_andn2_b64 exec, exec, s[24:25]
	s_cbranch_execnz .LBB1_213
.LBB1_214:                              ;   in Loop: Header=BB1_5 Depth=1
	s_or_b64 exec, exec, s[22:23]
	global_load_dwordx2 v[0:1], v3, s[12:13] offset:16
	s_mov_b64 s[24:25], exec
	v_mbcnt_lo_u32_b32 v2, s24, 0
	v_mbcnt_hi_u32_b32 v2, s25, v2
	v_cmp_eq_u32_e32 vcc, 0, v2
	s_and_saveexec_b64 s[22:23], vcc
	s_cbranch_execz .LBB1_216
; %bb.215:                              ;   in Loop: Header=BB1_5 Depth=1
	s_bcnt1_i32_b64 s24, s[24:25]
	v_mov_b32_e32 v2, s24
	buffer_wbl2
	s_waitcnt vmcnt(0)
	global_atomic_add_x2 v[0:1], v[2:3], off offset:8
.LBB1_216:                              ;   in Loop: Header=BB1_5 Depth=1
	s_or_b64 exec, exec, s[22:23]
	s_waitcnt vmcnt(0)
	global_load_dwordx2 v[16:17], v[0:1], off offset:16
	s_waitcnt vmcnt(0)
	v_cmp_eq_u64_e32 vcc, 0, v[16:17]
	s_cbranch_vccnz .LBB1_218
; %bb.217:                              ;   in Loop: Header=BB1_5 Depth=1
	global_load_dword v2, v[0:1], off offset:24
	s_waitcnt vmcnt(0)
	v_and_b32_e32 v0, 0xffffff, v2
	v_readfirstlane_b32 m0, v0
	buffer_wbl2
	global_store_dwordx2 v[16:17], v[2:3], off
	s_sendmsg sendmsg(MSG_INTERRUPT)
.LBB1_218:                              ;   in Loop: Header=BB1_5 Depth=1
	s_or_b64 exec, exec, s[20:21]
	v_add_co_u32_e32 v0, vcc, v4, v39
	v_addc_co_u32_e32 v1, vcc, 0, v5, vcc
	s_branch .LBB1_222
.LBB1_219:                              ;   in Loop: Header=BB1_222 Depth=2
	s_or_b64 exec, exec, s[20:21]
	v_readfirstlane_b32 s20, v2
	s_cmp_eq_u32 s20, 0
	s_cbranch_scc1 .LBB1_221
; %bb.220:                              ;   in Loop: Header=BB1_222 Depth=2
	s_sleep 1
	s_cbranch_execnz .LBB1_222
	s_branch .LBB1_224
.LBB1_221:                              ;   in Loop: Header=BB1_5 Depth=1
	s_branch .LBB1_224
.LBB1_222:                              ;   Parent Loop BB1_5 Depth=1
                                        ; =>  This Inner Loop Header: Depth=2
	v_mov_b32_e32 v2, 1
	s_and_saveexec_b64 s[20:21], s[2:3]
	s_cbranch_execz .LBB1_219
; %bb.223:                              ;   in Loop: Header=BB1_222 Depth=2
	global_load_dword v2, v[20:21], off offset:20 glc
	s_waitcnt vmcnt(0)
	buffer_invl2
	buffer_wbinvl1_vol
	v_and_b32_e32 v2, 1, v2
	s_branch .LBB1_219
.LBB1_224:                              ;   in Loop: Header=BB1_5 Depth=1
	global_load_dwordx2 v[16:17], v[0:1], off
	s_and_saveexec_b64 s[20:21], s[2:3]
	s_cbranch_execz .LBB1_228
; %bb.225:                              ;   in Loop: Header=BB1_5 Depth=1
	global_load_dwordx2 v[0:1], v3, s[12:13] offset:40
	global_load_dwordx2 v[4:5], v3, s[12:13] offset:24 glc
	global_load_dwordx2 v[22:23], v3, s[12:13]
	v_mov_b32_e32 v2, s19
	s_waitcnt vmcnt(2)
	v_add_co_u32_e32 v21, vcc, 1, v0
	v_addc_co_u32_e32 v24, vcc, 0, v1, vcc
	v_add_co_u32_e32 v18, vcc, s18, v21
	v_addc_co_u32_e32 v19, vcc, v24, v2, vcc
	v_cmp_eq_u64_e32 vcc, 0, v[18:19]
	v_cndmask_b32_e32 v19, v19, v24, vcc
	v_cndmask_b32_e32 v18, v18, v21, vcc
	v_and_b32_e32 v1, v19, v1
	v_and_b32_e32 v0, v18, v0
	v_mul_lo_u32 v1, v1, 24
	v_mul_hi_u32 v2, v0, 24
	v_mul_lo_u32 v0, v0, 24
	v_add_u32_e32 v1, v2, v1
	s_waitcnt vmcnt(0)
	v_add_co_u32_e32 v0, vcc, v22, v0
	v_addc_co_u32_e32 v1, vcc, v23, v1, vcc
	v_mov_b32_e32 v20, v4
	global_store_dwordx2 v[0:1], v[4:5], off
	v_mov_b32_e32 v21, v5
	buffer_wbl2
	s_waitcnt vmcnt(0)
	global_atomic_cmpswap_x2 v[20:21], v3, v[18:21], s[12:13] offset:24 glc
	s_waitcnt vmcnt(0)
	v_cmp_ne_u64_e32 vcc, v[20:21], v[4:5]
	s_and_b64 exec, exec, vcc
	s_cbranch_execz .LBB1_228
; %bb.226:                              ;   in Loop: Header=BB1_5 Depth=1
	s_mov_b64 s[2:3], 0
.LBB1_227:                              ;   Parent Loop BB1_5 Depth=1
                                        ; =>  This Inner Loop Header: Depth=2
	s_sleep 1
	global_store_dwordx2 v[0:1], v[20:21], off
	buffer_wbl2
	s_waitcnt vmcnt(0)
	global_atomic_cmpswap_x2 v[4:5], v3, v[18:21], s[12:13] offset:24 glc
	s_waitcnt vmcnt(0)
	v_cmp_eq_u64_e32 vcc, v[4:5], v[20:21]
	s_or_b64 s[2:3], vcc, s[2:3]
	v_pk_mov_b32 v[20:21], v[4:5], v[4:5] op_sel:[0,1]
	s_andn2_b64 exec, exec, s[2:3]
	s_cbranch_execnz .LBB1_227
.LBB1_228:                              ;   in Loop: Header=BB1_5 Depth=1
	s_or_b64 exec, exec, s[20:21]
	s_and_b64 vcc, exec, s[16:17]
	s_cbranch_vccnz .LBB1_117
.LBB1_229:                              ;   in Loop: Header=BB1_5 Depth=1
	s_cbranch_execz .LBB1_4
; %bb.230:                              ;   in Loop: Header=BB1_5 Depth=1
	v_readfirstlane_b32 s2, v38
	v_cmp_eq_u32_e64 s[2:3], s2, v38
	s_waitcnt vmcnt(0)
	v_pk_mov_b32 v[0:1], 0, 0
	s_and_saveexec_b64 s[18:19], s[2:3]
	s_cbranch_execz .LBB1_236
; %bb.231:                              ;   in Loop: Header=BB1_5 Depth=1
	global_load_dwordx2 v[20:21], v3, s[12:13] offset:24 glc
	s_waitcnt vmcnt(0)
	buffer_invl2
	buffer_wbinvl1_vol
	global_load_dwordx2 v[0:1], v3, s[12:13] offset:40
	global_load_dwordx2 v[4:5], v3, s[12:13]
	s_waitcnt vmcnt(1)
	v_and_b32_e32 v0, v0, v20
	v_and_b32_e32 v1, v1, v21
	v_mul_lo_u32 v1, v1, 24
	v_mul_hi_u32 v2, v0, 24
	v_mul_lo_u32 v0, v0, 24
	v_add_u32_e32 v1, v2, v1
	s_waitcnt vmcnt(0)
	v_add_co_u32_e32 v0, vcc, v4, v0
	v_addc_co_u32_e32 v1, vcc, v5, v1, vcc
	global_load_dwordx2 v[18:19], v[0:1], off glc
	s_waitcnt vmcnt(0)
	global_atomic_cmpswap_x2 v[0:1], v3, v[18:21], s[12:13] offset:24 glc
	s_waitcnt vmcnt(0)
	buffer_invl2
	buffer_wbinvl1_vol
	v_cmp_ne_u64_e32 vcc, v[0:1], v[20:21]
	s_and_saveexec_b64 s[20:21], vcc
	s_cbranch_execz .LBB1_235
; %bb.232:                              ;   in Loop: Header=BB1_5 Depth=1
	s_mov_b64 s[22:23], 0
.LBB1_233:                              ;   Parent Loop BB1_5 Depth=1
                                        ; =>  This Inner Loop Header: Depth=2
	s_sleep 1
	global_load_dwordx2 v[4:5], v3, s[12:13] offset:40
	global_load_dwordx2 v[18:19], v3, s[12:13]
	v_pk_mov_b32 v[20:21], v[0:1], v[0:1] op_sel:[0,1]
	s_waitcnt vmcnt(1)
	v_and_b32_e32 v0, v4, v20
	s_waitcnt vmcnt(0)
	v_mad_u64_u32 v[0:1], s[24:25], v0, 24, v[18:19]
	v_and_b32_e32 v5, v5, v21
	v_mov_b32_e32 v2, v1
	v_mad_u64_u32 v[4:5], s[24:25], v5, 24, v[2:3]
	v_mov_b32_e32 v1, v4
	global_load_dwordx2 v[18:19], v[0:1], off glc
	s_waitcnt vmcnt(0)
	global_atomic_cmpswap_x2 v[0:1], v3, v[18:21], s[12:13] offset:24 glc
	s_waitcnt vmcnt(0)
	buffer_invl2
	buffer_wbinvl1_vol
	v_cmp_eq_u64_e32 vcc, v[0:1], v[20:21]
	s_or_b64 s[22:23], vcc, s[22:23]
	s_andn2_b64 exec, exec, s[22:23]
	s_cbranch_execnz .LBB1_233
; %bb.234:                              ;   in Loop: Header=BB1_5 Depth=1
	s_or_b64 exec, exec, s[22:23]
.LBB1_235:                              ;   in Loop: Header=BB1_5 Depth=1
	s_or_b64 exec, exec, s[20:21]
.LBB1_236:                              ;   in Loop: Header=BB1_5 Depth=1
	s_or_b64 exec, exec, s[18:19]
	global_load_dwordx2 v[4:5], v3, s[12:13] offset:40
	global_load_dwordx4 v[20:23], v3, s[12:13]
	v_readfirstlane_b32 s18, v0
	v_readfirstlane_b32 s19, v1
	s_mov_b64 s[20:21], exec
	s_waitcnt vmcnt(1)
	v_readfirstlane_b32 s22, v4
	v_readfirstlane_b32 s23, v5
	s_and_b64 s[22:23], s[18:19], s[22:23]
	s_mul_i32 s24, s23, 24
	s_mul_hi_u32 s25, s22, 24
	s_mul_i32 s26, s22, 24
	s_add_i32 s24, s25, s24
	v_mov_b32_e32 v1, s24
	s_waitcnt vmcnt(0)
	v_add_co_u32_e32 v0, vcc, s26, v20
	v_addc_co_u32_e32 v1, vcc, v21, v1, vcc
	s_and_saveexec_b64 s[24:25], s[2:3]
	s_cbranch_execz .LBB1_238
; %bb.237:                              ;   in Loop: Header=BB1_5 Depth=1
	v_pk_mov_b32 v[4:5], s[20:21], s[20:21] op_sel:[0,1]
	global_store_dwordx4 v[0:1], v[4:7], off offset:8
.LBB1_238:                              ;   in Loop: Header=BB1_5 Depth=1
	s_or_b64 exec, exec, s[24:25]
	s_lshl_b64 s[20:21], s[22:23], 12
	v_mov_b32_e32 v4, s21
	v_add_co_u32_e32 v2, vcc, s20, v22
	v_addc_co_u32_e32 v5, vcc, v23, v4, vcc
	v_and_or_b32 v16, v16, s35, 34
	v_mov_b32_e32 v18, v3
	v_mov_b32_e32 v19, v3
	v_readfirstlane_b32 s20, v2
	v_readfirstlane_b32 s21, v5
	s_nop 4
	global_store_dwordx4 v39, v[16:19], s[20:21]
	s_nop 0
	v_pk_mov_b32 v[18:19], s[6:7], s[6:7] op_sel:[0,1]
	v_pk_mov_b32 v[16:17], s[4:5], s[4:5] op_sel:[0,1]
	global_store_dwordx4 v39, v[16:19], s[20:21] offset:16
	global_store_dwordx4 v39, v[16:19], s[20:21] offset:32
	;; [unrolled: 1-line block ×3, first 2 shown]
	s_and_saveexec_b64 s[20:21], s[2:3]
	s_cbranch_execz .LBB1_246
; %bb.239:                              ;   in Loop: Header=BB1_5 Depth=1
	global_load_dwordx2 v[24:25], v3, s[12:13] offset:32 glc
	global_load_dwordx2 v[4:5], v3, s[12:13] offset:40
	v_mov_b32_e32 v22, s18
	v_mov_b32_e32 v23, s19
	s_waitcnt vmcnt(0)
	v_readfirstlane_b32 s22, v4
	v_readfirstlane_b32 s23, v5
	s_and_b64 s[22:23], s[22:23], s[18:19]
	s_mul_i32 s23, s23, 24
	s_mul_hi_u32 s24, s22, 24
	s_mul_i32 s22, s22, 24
	s_add_i32 s23, s24, s23
	v_mov_b32_e32 v2, s23
	v_add_co_u32_e32 v4, vcc, s22, v20
	v_addc_co_u32_e32 v5, vcc, v21, v2, vcc
	global_store_dwordx2 v[4:5], v[24:25], off
	buffer_wbl2
	s_waitcnt vmcnt(0)
	global_atomic_cmpswap_x2 v[18:19], v3, v[22:25], s[12:13] offset:32 glc
	s_waitcnt vmcnt(0)
	v_cmp_ne_u64_e32 vcc, v[18:19], v[24:25]
	s_and_saveexec_b64 s[22:23], vcc
	s_cbranch_execz .LBB1_242
; %bb.240:                              ;   in Loop: Header=BB1_5 Depth=1
	s_mov_b64 s[24:25], 0
.LBB1_241:                              ;   Parent Loop BB1_5 Depth=1
                                        ; =>  This Inner Loop Header: Depth=2
	s_sleep 1
	global_store_dwordx2 v[4:5], v[18:19], off
	v_mov_b32_e32 v16, s18
	v_mov_b32_e32 v17, s19
	buffer_wbl2
	s_waitcnt vmcnt(0)
	global_atomic_cmpswap_x2 v[16:17], v3, v[16:19], s[12:13] offset:32 glc
	s_waitcnt vmcnt(0)
	v_cmp_eq_u64_e32 vcc, v[16:17], v[18:19]
	s_or_b64 s[24:25], vcc, s[24:25]
	v_pk_mov_b32 v[18:19], v[16:17], v[16:17] op_sel:[0,1]
	s_andn2_b64 exec, exec, s[24:25]
	s_cbranch_execnz .LBB1_241
.LBB1_242:                              ;   in Loop: Header=BB1_5 Depth=1
	s_or_b64 exec, exec, s[22:23]
	global_load_dwordx2 v[4:5], v3, s[12:13] offset:16
	s_mov_b64 s[24:25], exec
	v_mbcnt_lo_u32_b32 v2, s24, 0
	v_mbcnt_hi_u32_b32 v2, s25, v2
	v_cmp_eq_u32_e32 vcc, 0, v2
	s_and_saveexec_b64 s[22:23], vcc
	s_cbranch_execz .LBB1_244
; %bb.243:                              ;   in Loop: Header=BB1_5 Depth=1
	s_bcnt1_i32_b64 s24, s[24:25]
	v_mov_b32_e32 v2, s24
	buffer_wbl2
	s_waitcnt vmcnt(0)
	global_atomic_add_x2 v[4:5], v[2:3], off offset:8
.LBB1_244:                              ;   in Loop: Header=BB1_5 Depth=1
	s_or_b64 exec, exec, s[22:23]
	s_waitcnt vmcnt(0)
	global_load_dwordx2 v[16:17], v[4:5], off offset:16
	s_waitcnt vmcnt(0)
	v_cmp_eq_u64_e32 vcc, 0, v[16:17]
	s_cbranch_vccnz .LBB1_246
; %bb.245:                              ;   in Loop: Header=BB1_5 Depth=1
	global_load_dword v2, v[4:5], off offset:24
	buffer_wbl2
	s_waitcnt vmcnt(0)
	global_store_dwordx2 v[16:17], v[2:3], off
	v_and_b32_e32 v2, 0xffffff, v2
	v_readfirstlane_b32 m0, v2
	s_sendmsg sendmsg(MSG_INTERRUPT)
.LBB1_246:                              ;   in Loop: Header=BB1_5 Depth=1
	s_or_b64 exec, exec, s[20:21]
	s_branch .LBB1_250
.LBB1_247:                              ;   in Loop: Header=BB1_250 Depth=2
	s_or_b64 exec, exec, s[20:21]
	v_readfirstlane_b32 s20, v2
	s_cmp_eq_u32 s20, 0
	s_cbranch_scc1 .LBB1_249
; %bb.248:                              ;   in Loop: Header=BB1_250 Depth=2
	s_sleep 1
	s_cbranch_execnz .LBB1_250
	s_branch .LBB1_252
.LBB1_249:                              ;   in Loop: Header=BB1_5 Depth=1
	s_branch .LBB1_252
.LBB1_250:                              ;   Parent Loop BB1_5 Depth=1
                                        ; =>  This Inner Loop Header: Depth=2
	v_mov_b32_e32 v2, 1
	s_and_saveexec_b64 s[20:21], s[2:3]
	s_cbranch_execz .LBB1_247
; %bb.251:                              ;   in Loop: Header=BB1_250 Depth=2
	global_load_dword v2, v[0:1], off offset:20 glc
	s_waitcnt vmcnt(0)
	buffer_invl2
	buffer_wbinvl1_vol
	v_and_b32_e32 v2, 1, v2
	s_branch .LBB1_247
.LBB1_252:                              ;   in Loop: Header=BB1_5 Depth=1
	s_and_saveexec_b64 s[20:21], s[2:3]
	s_cbranch_execz .LBB1_3
; %bb.253:                              ;   in Loop: Header=BB1_5 Depth=1
	global_load_dwordx2 v[0:1], v3, s[12:13] offset:40
	global_load_dwordx2 v[4:5], v3, s[12:13] offset:24 glc
	global_load_dwordx2 v[20:21], v3, s[12:13]
	v_mov_b32_e32 v2, s19
	s_waitcnt vmcnt(2)
	v_add_co_u32_e32 v19, vcc, 1, v0
	v_addc_co_u32_e32 v22, vcc, 0, v1, vcc
	v_add_co_u32_e32 v16, vcc, s18, v19
	v_addc_co_u32_e32 v17, vcc, v22, v2, vcc
	v_cmp_eq_u64_e32 vcc, 0, v[16:17]
	v_cndmask_b32_e32 v17, v17, v22, vcc
	v_cndmask_b32_e32 v16, v16, v19, vcc
	v_and_b32_e32 v1, v17, v1
	v_and_b32_e32 v0, v16, v0
	v_mul_lo_u32 v1, v1, 24
	v_mul_hi_u32 v2, v0, 24
	v_mul_lo_u32 v0, v0, 24
	v_add_u32_e32 v1, v2, v1
	s_waitcnt vmcnt(0)
	v_add_co_u32_e32 v0, vcc, v20, v0
	v_addc_co_u32_e32 v1, vcc, v21, v1, vcc
	v_mov_b32_e32 v18, v4
	global_store_dwordx2 v[0:1], v[4:5], off
	v_mov_b32_e32 v19, v5
	buffer_wbl2
	s_waitcnt vmcnt(0)
	global_atomic_cmpswap_x2 v[18:19], v3, v[16:19], s[12:13] offset:24 glc
	s_waitcnt vmcnt(0)
	v_cmp_ne_u64_e32 vcc, v[18:19], v[4:5]
	s_and_b64 exec, exec, vcc
	s_cbranch_execz .LBB1_3
; %bb.254:                              ;   in Loop: Header=BB1_5 Depth=1
	s_mov_b64 s[2:3], 0
.LBB1_255:                              ;   Parent Loop BB1_5 Depth=1
                                        ; =>  This Inner Loop Header: Depth=2
	s_sleep 1
	global_store_dwordx2 v[0:1], v[18:19], off
	buffer_wbl2
	s_waitcnt vmcnt(0)
	global_atomic_cmpswap_x2 v[4:5], v3, v[16:19], s[12:13] offset:24 glc
	s_waitcnt vmcnt(0)
	v_cmp_eq_u64_e32 vcc, v[4:5], v[18:19]
	s_or_b64 s[2:3], vcc, s[2:3]
	v_pk_mov_b32 v[18:19], v[4:5], v[4:5] op_sel:[0,1]
	s_andn2_b64 exec, exec, s[2:3]
	s_cbranch_execnz .LBB1_255
	s_branch .LBB1_3
.LBB1_256:
	s_andn2_saveexec_b64 s[2:3], s[10:11]
	s_cbranch_execz .LBB1_512
; %bb.257:
	s_and_b64 vcc, exec, s[0:1]
	s_cbranch_vccnz .LBB1_512
; %bb.258:
	s_load_dwordx2 s[2:3], s[8:9], 0x50
	s_getpc_b64 s[0:1]
	s_add_u32 s0, s0, .str@rel32@lo+4
	s_addc_u32 s1, s1, .str@rel32@hi+12
	s_mov_b32 s4, 0
	s_cmp_lg_u64 s[0:1], 0
	s_waitcnt vmcnt(0)
	v_mbcnt_lo_u32_b32 v0, -1, 0
	s_cselect_b64 s[8:9], -1, 0
	s_getpc_b64 s[0:1]
	s_add_u32 s0, s0, .str.2@rel32@lo+4
	s_addc_u32 s1, s1, .str.2@rel32@hi+12
	s_mov_b32 s6, s4
	s_mov_b32 s7, s4
	v_mbcnt_hi_u32_b32 v38, -1, v0
	v_mov_b32_e32 v3, 0
	s_cmp_lg_u64 s[0:1], 0
	s_mov_b32 s5, s4
	v_pk_mov_b32 v[14:15], s[6:7], s[6:7] op_sel:[0,1]
	s_cselect_b64 s[10:11], -1, 0
	v_lshlrev_b32_e32 v39, 6, v38
	s_movk_i32 s26, 0xff1f
	s_movk_i32 s27, 0xff1d
	v_mov_b32_e32 v6, 2
	v_mov_b32_e32 v7, 1
	;; [unrolled: 1-line block ×6, first 2 shown]
	v_pk_mov_b32 v[12:13], s[4:5], s[4:5] op_sel:[0,1]
	s_mov_b32 s28, s4
	s_branch .LBB1_261
.LBB1_259:                              ;   in Loop: Header=BB1_261 Depth=1
	s_or_b64 exec, exec, s[14:15]
.LBB1_260:                              ;   in Loop: Header=BB1_261 Depth=1
	s_add_i32 s28, s28, 1
	s_cmp_eq_u32 s28, s33
	s_cbranch_scc1 .LBB1_512
.LBB1_261:                              ; =>This Loop Header: Depth=1
                                        ;     Child Loop BB1_264 Depth 2
                                        ;     Child Loop BB1_272 Depth 2
	;; [unrolled: 1-line block ×9, first 2 shown]
                                        ;       Child Loop BB1_293 Depth 3
                                        ;       Child Loop BB1_300 Depth 3
	;; [unrolled: 1-line block ×11, first 2 shown]
                                        ;     Child Loop BB1_489 Depth 2
                                        ;     Child Loop BB1_497 Depth 2
	;; [unrolled: 1-line block ×5, first 2 shown]
                                        ;       Child Loop BB1_378 Depth 3
                                        ;       Child Loop BB1_385 Depth 3
	;; [unrolled: 1-line block ×11, first 2 shown]
	v_readfirstlane_b32 s0, v38
	v_cmp_eq_u32_e64 s[0:1], s0, v38
	s_waitcnt vmcnt(0)
	v_pk_mov_b32 v[0:1], 0, 0
	s_and_saveexec_b64 s[12:13], s[0:1]
	s_cbranch_execz .LBB1_267
; %bb.262:                              ;   in Loop: Header=BB1_261 Depth=1
	s_waitcnt lgkmcnt(0)
	global_load_dwordx2 v[18:19], v3, s[2:3] offset:24 glc
	s_waitcnt vmcnt(0)
	buffer_invl2
	buffer_wbinvl1_vol
	global_load_dwordx2 v[0:1], v3, s[2:3] offset:40
	global_load_dwordx2 v[4:5], v3, s[2:3]
	s_waitcnt vmcnt(1)
	v_and_b32_e32 v0, v0, v18
	v_and_b32_e32 v1, v1, v19
	v_mul_lo_u32 v1, v1, 24
	v_mul_hi_u32 v2, v0, 24
	v_mul_lo_u32 v0, v0, 24
	v_add_u32_e32 v1, v2, v1
	s_waitcnt vmcnt(0)
	v_add_co_u32_e32 v0, vcc, v4, v0
	v_addc_co_u32_e32 v1, vcc, v5, v1, vcc
	global_load_dwordx2 v[16:17], v[0:1], off glc
	s_waitcnt vmcnt(0)
	global_atomic_cmpswap_x2 v[0:1], v3, v[16:19], s[2:3] offset:24 glc
	s_waitcnt vmcnt(0)
	buffer_invl2
	buffer_wbinvl1_vol
	v_cmp_ne_u64_e32 vcc, v[0:1], v[18:19]
	s_and_saveexec_b64 s[14:15], vcc
	s_cbranch_execz .LBB1_266
; %bb.263:                              ;   in Loop: Header=BB1_261 Depth=1
	s_mov_b64 s[16:17], 0
.LBB1_264:                              ;   Parent Loop BB1_261 Depth=1
                                        ; =>  This Inner Loop Header: Depth=2
	s_sleep 1
	global_load_dwordx2 v[4:5], v3, s[2:3] offset:40
	global_load_dwordx2 v[16:17], v3, s[2:3]
	v_pk_mov_b32 v[18:19], v[0:1], v[0:1] op_sel:[0,1]
	s_waitcnt vmcnt(1)
	v_and_b32_e32 v0, v4, v18
	s_waitcnt vmcnt(0)
	v_mad_u64_u32 v[0:1], s[18:19], v0, 24, v[16:17]
	v_and_b32_e32 v5, v5, v19
	v_mov_b32_e32 v2, v1
	v_mad_u64_u32 v[4:5], s[18:19], v5, 24, v[2:3]
	v_mov_b32_e32 v1, v4
	global_load_dwordx2 v[16:17], v[0:1], off glc
	s_waitcnt vmcnt(0)
	global_atomic_cmpswap_x2 v[0:1], v3, v[16:19], s[2:3] offset:24 glc
	s_waitcnt vmcnt(0)
	buffer_invl2
	buffer_wbinvl1_vol
	v_cmp_eq_u64_e32 vcc, v[0:1], v[18:19]
	s_or_b64 s[16:17], vcc, s[16:17]
	s_andn2_b64 exec, exec, s[16:17]
	s_cbranch_execnz .LBB1_264
; %bb.265:                              ;   in Loop: Header=BB1_261 Depth=1
	s_or_b64 exec, exec, s[16:17]
.LBB1_266:                              ;   in Loop: Header=BB1_261 Depth=1
	s_or_b64 exec, exec, s[14:15]
.LBB1_267:                              ;   in Loop: Header=BB1_261 Depth=1
	s_or_b64 exec, exec, s[12:13]
	s_waitcnt lgkmcnt(0)
	global_load_dwordx2 v[4:5], v3, s[2:3] offset:40
	global_load_dwordx4 v[16:19], v3, s[2:3]
	v_readfirstlane_b32 s12, v0
	v_readfirstlane_b32 s13, v1
	s_mov_b64 s[14:15], exec
	s_waitcnt vmcnt(1)
	v_readfirstlane_b32 s16, v4
	v_readfirstlane_b32 s17, v5
	s_and_b64 s[16:17], s[12:13], s[16:17]
	s_mul_i32 s18, s17, 24
	s_mul_hi_u32 s19, s16, 24
	s_mul_i32 s20, s16, 24
	s_add_i32 s18, s19, s18
	v_mov_b32_e32 v1, s18
	s_waitcnt vmcnt(0)
	v_add_co_u32_e32 v0, vcc, s20, v16
	v_addc_co_u32_e32 v1, vcc, v17, v1, vcc
	s_and_saveexec_b64 s[18:19], s[0:1]
	s_cbranch_execz .LBB1_269
; %bb.268:                              ;   in Loop: Header=BB1_261 Depth=1
	v_pk_mov_b32 v[4:5], s[14:15], s[14:15] op_sel:[0,1]
	global_store_dwordx4 v[0:1], v[4:7], off offset:8
.LBB1_269:                              ;   in Loop: Header=BB1_261 Depth=1
	s_or_b64 exec, exec, s[18:19]
	s_lshl_b64 s[14:15], s[16:17], 12
	v_mov_b32_e32 v2, s15
	v_add_co_u32_e32 v4, vcc, s14, v18
	v_addc_co_u32_e32 v5, vcc, v19, v2, vcc
	v_readfirstlane_b32 s14, v4
	v_readfirstlane_b32 s15, v5
	s_nop 4
	global_store_dwordx4 v39, v[8:11], s[14:15]
	global_store_dwordx4 v39, v[12:15], s[14:15] offset:16
	global_store_dwordx4 v39, v[12:15], s[14:15] offset:32
	;; [unrolled: 1-line block ×3, first 2 shown]
	s_and_saveexec_b64 s[14:15], s[0:1]
	s_cbranch_execz .LBB1_277
; %bb.270:                              ;   in Loop: Header=BB1_261 Depth=1
	global_load_dwordx2 v[24:25], v3, s[2:3] offset:32 glc
	global_load_dwordx2 v[18:19], v3, s[2:3] offset:40
	v_mov_b32_e32 v22, s12
	v_mov_b32_e32 v23, s13
	s_waitcnt vmcnt(0)
	v_readfirstlane_b32 s16, v18
	v_readfirstlane_b32 s17, v19
	s_and_b64 s[16:17], s[16:17], s[12:13]
	s_mul_i32 s17, s17, 24
	s_mul_hi_u32 s18, s16, 24
	s_mul_i32 s16, s16, 24
	s_add_i32 s17, s18, s17
	v_mov_b32_e32 v2, s17
	v_add_co_u32_e32 v20, vcc, s16, v16
	v_addc_co_u32_e32 v21, vcc, v17, v2, vcc
	global_store_dwordx2 v[20:21], v[24:25], off
	buffer_wbl2
	s_waitcnt vmcnt(0)
	global_atomic_cmpswap_x2 v[18:19], v3, v[22:25], s[2:3] offset:32 glc
	s_waitcnt vmcnt(0)
	v_cmp_ne_u64_e32 vcc, v[18:19], v[24:25]
	s_and_saveexec_b64 s[16:17], vcc
	s_cbranch_execz .LBB1_273
; %bb.271:                              ;   in Loop: Header=BB1_261 Depth=1
	s_mov_b64 s[18:19], 0
.LBB1_272:                              ;   Parent Loop BB1_261 Depth=1
                                        ; =>  This Inner Loop Header: Depth=2
	s_sleep 1
	global_store_dwordx2 v[20:21], v[18:19], off
	v_mov_b32_e32 v16, s12
	v_mov_b32_e32 v17, s13
	buffer_wbl2
	s_waitcnt vmcnt(0)
	global_atomic_cmpswap_x2 v[16:17], v3, v[16:19], s[2:3] offset:32 glc
	s_waitcnt vmcnt(0)
	v_cmp_eq_u64_e32 vcc, v[16:17], v[18:19]
	s_or_b64 s[18:19], vcc, s[18:19]
	v_pk_mov_b32 v[18:19], v[16:17], v[16:17] op_sel:[0,1]
	s_andn2_b64 exec, exec, s[18:19]
	s_cbranch_execnz .LBB1_272
.LBB1_273:                              ;   in Loop: Header=BB1_261 Depth=1
	s_or_b64 exec, exec, s[16:17]
	global_load_dwordx2 v[16:17], v3, s[2:3] offset:16
	s_mov_b64 s[18:19], exec
	v_mbcnt_lo_u32_b32 v2, s18, 0
	v_mbcnt_hi_u32_b32 v2, s19, v2
	v_cmp_eq_u32_e32 vcc, 0, v2
	s_and_saveexec_b64 s[16:17], vcc
	s_cbranch_execz .LBB1_275
; %bb.274:                              ;   in Loop: Header=BB1_261 Depth=1
	s_bcnt1_i32_b64 s18, s[18:19]
	v_mov_b32_e32 v2, s18
	buffer_wbl2
	s_waitcnt vmcnt(0)
	global_atomic_add_x2 v[16:17], v[2:3], off offset:8
.LBB1_275:                              ;   in Loop: Header=BB1_261 Depth=1
	s_or_b64 exec, exec, s[16:17]
	s_waitcnt vmcnt(0)
	global_load_dwordx2 v[18:19], v[16:17], off offset:16
	s_waitcnt vmcnt(0)
	v_cmp_eq_u64_e32 vcc, 0, v[18:19]
	s_cbranch_vccnz .LBB1_277
; %bb.276:                              ;   in Loop: Header=BB1_261 Depth=1
	global_load_dword v2, v[16:17], off offset:24
	buffer_wbl2
	s_waitcnt vmcnt(0)
	global_store_dwordx2 v[18:19], v[2:3], off
	v_and_b32_e32 v2, 0xffffff, v2
	v_readfirstlane_b32 m0, v2
	s_sendmsg sendmsg(MSG_INTERRUPT)
.LBB1_277:                              ;   in Loop: Header=BB1_261 Depth=1
	s_or_b64 exec, exec, s[14:15]
	v_add_co_u32_e32 v4, vcc, v4, v39
	v_addc_co_u32_e32 v5, vcc, 0, v5, vcc
	s_branch .LBB1_281
.LBB1_278:                              ;   in Loop: Header=BB1_281 Depth=2
	s_or_b64 exec, exec, s[14:15]
	v_readfirstlane_b32 s14, v2
	s_cmp_eq_u32 s14, 0
	s_cbranch_scc1 .LBB1_280
; %bb.279:                              ;   in Loop: Header=BB1_281 Depth=2
	s_sleep 1
	s_cbranch_execnz .LBB1_281
	s_branch .LBB1_283
.LBB1_280:                              ;   in Loop: Header=BB1_261 Depth=1
	s_branch .LBB1_283
.LBB1_281:                              ;   Parent Loop BB1_261 Depth=1
                                        ; =>  This Inner Loop Header: Depth=2
	v_mov_b32_e32 v2, 1
	s_and_saveexec_b64 s[14:15], s[0:1]
	s_cbranch_execz .LBB1_278
; %bb.282:                              ;   in Loop: Header=BB1_281 Depth=2
	global_load_dword v2, v[0:1], off offset:20 glc
	s_waitcnt vmcnt(0)
	buffer_invl2
	buffer_wbinvl1_vol
	v_and_b32_e32 v2, 1, v2
	s_branch .LBB1_278
.LBB1_283:                              ;   in Loop: Header=BB1_261 Depth=1
	global_load_dwordx2 v[0:1], v[4:5], off
	s_and_saveexec_b64 s[14:15], s[0:1]
	s_cbranch_execz .LBB1_287
; %bb.284:                              ;   in Loop: Header=BB1_261 Depth=1
	global_load_dwordx2 v[4:5], v3, s[2:3] offset:40
	global_load_dwordx2 v[20:21], v3, s[2:3] offset:24 glc
	global_load_dwordx2 v[22:23], v3, s[2:3]
	v_mov_b32_e32 v2, s13
	s_waitcnt vmcnt(2)
	v_add_co_u32_e32 v19, vcc, 1, v4
	v_addc_co_u32_e32 v24, vcc, 0, v5, vcc
	v_add_co_u32_e32 v16, vcc, s12, v19
	v_addc_co_u32_e32 v17, vcc, v24, v2, vcc
	v_cmp_eq_u64_e32 vcc, 0, v[16:17]
	v_cndmask_b32_e32 v17, v17, v24, vcc
	v_cndmask_b32_e32 v16, v16, v19, vcc
	v_and_b32_e32 v2, v17, v5
	v_and_b32_e32 v4, v16, v4
	v_mul_lo_u32 v2, v2, 24
	v_mul_hi_u32 v5, v4, 24
	v_mul_lo_u32 v4, v4, 24
	v_add_u32_e32 v2, v5, v2
	s_waitcnt vmcnt(0)
	v_add_co_u32_e32 v4, vcc, v22, v4
	v_addc_co_u32_e32 v5, vcc, v23, v2, vcc
	v_mov_b32_e32 v18, v20
	global_store_dwordx2 v[4:5], v[20:21], off
	v_mov_b32_e32 v19, v21
	buffer_wbl2
	s_waitcnt vmcnt(0)
	global_atomic_cmpswap_x2 v[18:19], v3, v[16:19], s[2:3] offset:24 glc
	s_waitcnt vmcnt(0)
	v_cmp_ne_u64_e32 vcc, v[18:19], v[20:21]
	s_and_b64 exec, exec, vcc
	s_cbranch_execz .LBB1_287
; %bb.285:                              ;   in Loop: Header=BB1_261 Depth=1
	s_mov_b64 s[0:1], 0
.LBB1_286:                              ;   Parent Loop BB1_261 Depth=1
                                        ; =>  This Inner Loop Header: Depth=2
	s_sleep 1
	global_store_dwordx2 v[4:5], v[18:19], off
	buffer_wbl2
	s_waitcnt vmcnt(0)
	global_atomic_cmpswap_x2 v[20:21], v3, v[16:19], s[2:3] offset:24 glc
	s_waitcnt vmcnt(0)
	v_cmp_eq_u64_e32 vcc, v[20:21], v[18:19]
	s_or_b64 s[0:1], vcc, s[0:1]
	v_pk_mov_b32 v[18:19], v[20:21], v[20:21] op_sel:[0,1]
	s_andn2_b64 exec, exec, s[0:1]
	s_cbranch_execnz .LBB1_286
.LBB1_287:                              ;   in Loop: Header=BB1_261 Depth=1
	s_or_b64 exec, exec, s[14:15]
	s_and_b64 vcc, exec, s[8:9]
	s_cbranch_vccz .LBB1_457
; %bb.288:                              ;   in Loop: Header=BB1_261 Depth=1
	s_waitcnt vmcnt(0)
	v_and_b32_e32 v36, 2, v0
	v_and_b32_e32 v16, -3, v0
	v_mov_b32_e32 v17, v1
	s_mov_b64 s[14:15], 3
	s_getpc_b64 s[12:13]
	s_add_u32 s12, s12, .str@rel32@lo+4
	s_addc_u32 s13, s13, .str@rel32@hi+12
	s_branch .LBB1_290
.LBB1_289:                              ;   in Loop: Header=BB1_290 Depth=2
	s_or_b64 exec, exec, s[20:21]
	s_sub_u32 s14, s14, s16
	s_subb_u32 s15, s15, s17
	s_add_u32 s12, s12, s16
	s_addc_u32 s13, s13, s17
	s_cmp_lg_u64 s[14:15], 0
	s_cbranch_scc0 .LBB1_371
.LBB1_290:                              ;   Parent Loop BB1_261 Depth=1
                                        ; =>  This Loop Header: Depth=2
                                        ;       Child Loop BB1_293 Depth 3
                                        ;       Child Loop BB1_300 Depth 3
	;; [unrolled: 1-line block ×11, first 2 shown]
	v_cmp_lt_u64_e64 s[0:1], s[14:15], 56
	s_and_b64 s[0:1], s[0:1], exec
	v_cmp_gt_u64_e64 s[0:1], s[14:15], 7
	s_cselect_b32 s17, s15, 0
	s_cselect_b32 s16, s14, 56
	s_and_b64 vcc, exec, s[0:1]
	s_cbranch_vccnz .LBB1_295
; %bb.291:                              ;   in Loop: Header=BB1_290 Depth=2
	s_mov_b64 s[0:1], 0
	s_cmp_eq_u64 s[14:15], 0
	s_waitcnt vmcnt(0)
	v_pk_mov_b32 v[18:19], 0, 0
	s_cbranch_scc1 .LBB1_294
; %bb.292:                              ;   in Loop: Header=BB1_290 Depth=2
	s_lshl_b64 s[18:19], s[16:17], 3
	s_mov_b64 s[20:21], 0
	v_pk_mov_b32 v[18:19], 0, 0
	s_mov_b64 s[22:23], s[12:13]
.LBB1_293:                              ;   Parent Loop BB1_261 Depth=1
                                        ;     Parent Loop BB1_290 Depth=2
                                        ; =>    This Inner Loop Header: Depth=3
	global_load_ubyte v2, v3, s[22:23]
	s_waitcnt vmcnt(0)
	v_and_b32_e32 v2, 0xffff, v2
	v_lshlrev_b64 v[4:5], s20, v[2:3]
	s_add_u32 s20, s20, 8
	s_addc_u32 s21, s21, 0
	s_add_u32 s22, s22, 1
	s_addc_u32 s23, s23, 0
	v_or_b32_e32 v18, v4, v18
	s_cmp_lg_u32 s18, s20
	v_or_b32_e32 v19, v5, v19
	s_cbranch_scc1 .LBB1_293
.LBB1_294:                              ;   in Loop: Header=BB1_290 Depth=2
	s_mov_b32 s22, 0
	s_andn2_b64 vcc, exec, s[0:1]
	s_mov_b64 s[0:1], s[12:13]
	s_cbranch_vccz .LBB1_296
	s_branch .LBB1_297
.LBB1_295:                              ;   in Loop: Header=BB1_290 Depth=2
                                        ; implicit-def: $vgpr18_vgpr19
                                        ; implicit-def: $sgpr22
	s_mov_b64 s[0:1], s[12:13]
.LBB1_296:                              ;   in Loop: Header=BB1_290 Depth=2
	global_load_dwordx2 v[18:19], v3, s[12:13]
	s_add_i32 s22, s16, -8
	s_add_u32 s0, s12, 8
	s_addc_u32 s1, s13, 0
.LBB1_297:                              ;   in Loop: Header=BB1_290 Depth=2
	s_cmp_gt_u32 s22, 7
	s_cbranch_scc1 .LBB1_301
; %bb.298:                              ;   in Loop: Header=BB1_290 Depth=2
	s_cmp_eq_u32 s22, 0
	s_cbranch_scc1 .LBB1_302
; %bb.299:                              ;   in Loop: Header=BB1_290 Depth=2
	s_mov_b64 s[18:19], 0
	v_pk_mov_b32 v[20:21], 0, 0
	s_mov_b64 s[20:21], 0
.LBB1_300:                              ;   Parent Loop BB1_261 Depth=1
                                        ;     Parent Loop BB1_290 Depth=2
                                        ; =>    This Inner Loop Header: Depth=3
	s_add_u32 s24, s0, s20
	s_addc_u32 s25, s1, s21
	global_load_ubyte v2, v3, s[24:25]
	s_add_u32 s20, s20, 1
	s_addc_u32 s21, s21, 0
	s_waitcnt vmcnt(0)
	v_and_b32_e32 v2, 0xffff, v2
	v_lshlrev_b64 v[4:5], s18, v[2:3]
	s_add_u32 s18, s18, 8
	s_addc_u32 s19, s19, 0
	v_or_b32_e32 v20, v4, v20
	s_cmp_lg_u32 s22, s20
	v_or_b32_e32 v21, v5, v21
	s_cbranch_scc1 .LBB1_300
	s_branch .LBB1_303
.LBB1_301:                              ;   in Loop: Header=BB1_290 Depth=2
                                        ; implicit-def: $vgpr20_vgpr21
                                        ; implicit-def: $sgpr23
	s_branch .LBB1_304
.LBB1_302:                              ;   in Loop: Header=BB1_290 Depth=2
	v_pk_mov_b32 v[20:21], 0, 0
.LBB1_303:                              ;   in Loop: Header=BB1_290 Depth=2
	s_mov_b32 s23, 0
	s_cbranch_execnz .LBB1_305
.LBB1_304:                              ;   in Loop: Header=BB1_290 Depth=2
	global_load_dwordx2 v[20:21], v3, s[0:1]
	s_add_i32 s23, s22, -8
	s_add_u32 s0, s0, 8
	s_addc_u32 s1, s1, 0
.LBB1_305:                              ;   in Loop: Header=BB1_290 Depth=2
	s_cmp_gt_u32 s23, 7
	s_cbranch_scc1 .LBB1_309
; %bb.306:                              ;   in Loop: Header=BB1_290 Depth=2
	s_cmp_eq_u32 s23, 0
	s_cbranch_scc1 .LBB1_310
; %bb.307:                              ;   in Loop: Header=BB1_290 Depth=2
	s_mov_b64 s[18:19], 0
	v_pk_mov_b32 v[22:23], 0, 0
	s_mov_b64 s[20:21], 0
.LBB1_308:                              ;   Parent Loop BB1_261 Depth=1
                                        ;     Parent Loop BB1_290 Depth=2
                                        ; =>    This Inner Loop Header: Depth=3
	s_add_u32 s24, s0, s20
	s_addc_u32 s25, s1, s21
	global_load_ubyte v2, v3, s[24:25]
	s_add_u32 s20, s20, 1
	s_addc_u32 s21, s21, 0
	s_waitcnt vmcnt(0)
	v_and_b32_e32 v2, 0xffff, v2
	v_lshlrev_b64 v[4:5], s18, v[2:3]
	s_add_u32 s18, s18, 8
	s_addc_u32 s19, s19, 0
	v_or_b32_e32 v22, v4, v22
	s_cmp_lg_u32 s23, s20
	v_or_b32_e32 v23, v5, v23
	s_cbranch_scc1 .LBB1_308
	s_branch .LBB1_311
.LBB1_309:                              ;   in Loop: Header=BB1_290 Depth=2
                                        ; implicit-def: $sgpr22
	s_branch .LBB1_312
.LBB1_310:                              ;   in Loop: Header=BB1_290 Depth=2
	v_pk_mov_b32 v[22:23], 0, 0
.LBB1_311:                              ;   in Loop: Header=BB1_290 Depth=2
	s_mov_b32 s22, 0
	s_cbranch_execnz .LBB1_313
.LBB1_312:                              ;   in Loop: Header=BB1_290 Depth=2
	global_load_dwordx2 v[22:23], v3, s[0:1]
	s_add_i32 s22, s23, -8
	s_add_u32 s0, s0, 8
	s_addc_u32 s1, s1, 0
.LBB1_313:                              ;   in Loop: Header=BB1_290 Depth=2
	s_cmp_gt_u32 s22, 7
	s_cbranch_scc1 .LBB1_317
; %bb.314:                              ;   in Loop: Header=BB1_290 Depth=2
	s_cmp_eq_u32 s22, 0
	s_cbranch_scc1 .LBB1_318
; %bb.315:                              ;   in Loop: Header=BB1_290 Depth=2
	s_mov_b64 s[18:19], 0
	v_pk_mov_b32 v[24:25], 0, 0
	s_mov_b64 s[20:21], 0
.LBB1_316:                              ;   Parent Loop BB1_261 Depth=1
                                        ;     Parent Loop BB1_290 Depth=2
                                        ; =>    This Inner Loop Header: Depth=3
	s_add_u32 s24, s0, s20
	s_addc_u32 s25, s1, s21
	global_load_ubyte v2, v3, s[24:25]
	s_add_u32 s20, s20, 1
	s_addc_u32 s21, s21, 0
	s_waitcnt vmcnt(0)
	v_and_b32_e32 v2, 0xffff, v2
	v_lshlrev_b64 v[4:5], s18, v[2:3]
	s_add_u32 s18, s18, 8
	s_addc_u32 s19, s19, 0
	v_or_b32_e32 v24, v4, v24
	s_cmp_lg_u32 s22, s20
	v_or_b32_e32 v25, v5, v25
	s_cbranch_scc1 .LBB1_316
	s_branch .LBB1_319
.LBB1_317:                              ;   in Loop: Header=BB1_290 Depth=2
                                        ; implicit-def: $vgpr24_vgpr25
                                        ; implicit-def: $sgpr23
	s_branch .LBB1_320
.LBB1_318:                              ;   in Loop: Header=BB1_290 Depth=2
	v_pk_mov_b32 v[24:25], 0, 0
.LBB1_319:                              ;   in Loop: Header=BB1_290 Depth=2
	s_mov_b32 s23, 0
	s_cbranch_execnz .LBB1_321
.LBB1_320:                              ;   in Loop: Header=BB1_290 Depth=2
	global_load_dwordx2 v[24:25], v3, s[0:1]
	s_add_i32 s23, s22, -8
	s_add_u32 s0, s0, 8
	s_addc_u32 s1, s1, 0
.LBB1_321:                              ;   in Loop: Header=BB1_290 Depth=2
	s_cmp_gt_u32 s23, 7
	s_cbranch_scc1 .LBB1_325
; %bb.322:                              ;   in Loop: Header=BB1_290 Depth=2
	s_cmp_eq_u32 s23, 0
	s_cbranch_scc1 .LBB1_326
; %bb.323:                              ;   in Loop: Header=BB1_290 Depth=2
	s_mov_b64 s[18:19], 0
	v_pk_mov_b32 v[26:27], 0, 0
	s_mov_b64 s[20:21], 0
.LBB1_324:                              ;   Parent Loop BB1_261 Depth=1
                                        ;     Parent Loop BB1_290 Depth=2
                                        ; =>    This Inner Loop Header: Depth=3
	s_add_u32 s24, s0, s20
	s_addc_u32 s25, s1, s21
	global_load_ubyte v2, v3, s[24:25]
	s_add_u32 s20, s20, 1
	s_addc_u32 s21, s21, 0
	s_waitcnt vmcnt(0)
	v_and_b32_e32 v2, 0xffff, v2
	v_lshlrev_b64 v[4:5], s18, v[2:3]
	s_add_u32 s18, s18, 8
	s_addc_u32 s19, s19, 0
	v_or_b32_e32 v26, v4, v26
	s_cmp_lg_u32 s23, s20
	v_or_b32_e32 v27, v5, v27
	s_cbranch_scc1 .LBB1_324
	s_branch .LBB1_327
.LBB1_325:                              ;   in Loop: Header=BB1_290 Depth=2
                                        ; implicit-def: $sgpr22
	s_branch .LBB1_328
.LBB1_326:                              ;   in Loop: Header=BB1_290 Depth=2
	v_pk_mov_b32 v[26:27], 0, 0
.LBB1_327:                              ;   in Loop: Header=BB1_290 Depth=2
	s_mov_b32 s22, 0
	s_cbranch_execnz .LBB1_329
.LBB1_328:                              ;   in Loop: Header=BB1_290 Depth=2
	global_load_dwordx2 v[26:27], v3, s[0:1]
	s_add_i32 s22, s23, -8
	s_add_u32 s0, s0, 8
	s_addc_u32 s1, s1, 0
.LBB1_329:                              ;   in Loop: Header=BB1_290 Depth=2
	s_cmp_gt_u32 s22, 7
	s_cbranch_scc1 .LBB1_333
; %bb.330:                              ;   in Loop: Header=BB1_290 Depth=2
	s_cmp_eq_u32 s22, 0
	s_cbranch_scc1 .LBB1_334
; %bb.331:                              ;   in Loop: Header=BB1_290 Depth=2
	s_mov_b64 s[18:19], 0
	v_pk_mov_b32 v[28:29], 0, 0
	s_mov_b64 s[20:21], 0
.LBB1_332:                              ;   Parent Loop BB1_261 Depth=1
                                        ;     Parent Loop BB1_290 Depth=2
                                        ; =>    This Inner Loop Header: Depth=3
	s_add_u32 s24, s0, s20
	s_addc_u32 s25, s1, s21
	global_load_ubyte v2, v3, s[24:25]
	s_add_u32 s20, s20, 1
	s_addc_u32 s21, s21, 0
	s_waitcnt vmcnt(0)
	v_and_b32_e32 v2, 0xffff, v2
	v_lshlrev_b64 v[4:5], s18, v[2:3]
	s_add_u32 s18, s18, 8
	s_addc_u32 s19, s19, 0
	v_or_b32_e32 v28, v4, v28
	s_cmp_lg_u32 s22, s20
	v_or_b32_e32 v29, v5, v29
	s_cbranch_scc1 .LBB1_332
	s_branch .LBB1_335
.LBB1_333:                              ;   in Loop: Header=BB1_290 Depth=2
                                        ; implicit-def: $vgpr28_vgpr29
                                        ; implicit-def: $sgpr23
	s_branch .LBB1_336
.LBB1_334:                              ;   in Loop: Header=BB1_290 Depth=2
	v_pk_mov_b32 v[28:29], 0, 0
.LBB1_335:                              ;   in Loop: Header=BB1_290 Depth=2
	s_mov_b32 s23, 0
	s_cbranch_execnz .LBB1_337
.LBB1_336:                              ;   in Loop: Header=BB1_290 Depth=2
	global_load_dwordx2 v[28:29], v3, s[0:1]
	s_add_i32 s23, s22, -8
	s_add_u32 s0, s0, 8
	s_addc_u32 s1, s1, 0
.LBB1_337:                              ;   in Loop: Header=BB1_290 Depth=2
	s_cmp_gt_u32 s23, 7
	s_cbranch_scc1 .LBB1_341
; %bb.338:                              ;   in Loop: Header=BB1_290 Depth=2
	s_cmp_eq_u32 s23, 0
	s_cbranch_scc1 .LBB1_342
; %bb.339:                              ;   in Loop: Header=BB1_290 Depth=2
	s_mov_b64 s[18:19], 0
	v_pk_mov_b32 v[30:31], 0, 0
	s_mov_b64 s[20:21], s[0:1]
.LBB1_340:                              ;   Parent Loop BB1_261 Depth=1
                                        ;     Parent Loop BB1_290 Depth=2
                                        ; =>    This Inner Loop Header: Depth=3
	global_load_ubyte v2, v3, s[20:21]
	s_add_i32 s23, s23, -1
	s_waitcnt vmcnt(0)
	v_and_b32_e32 v2, 0xffff, v2
	v_lshlrev_b64 v[4:5], s18, v[2:3]
	s_add_u32 s18, s18, 8
	s_addc_u32 s19, s19, 0
	s_add_u32 s20, s20, 1
	s_addc_u32 s21, s21, 0
	v_or_b32_e32 v30, v4, v30
	s_cmp_lg_u32 s23, 0
	v_or_b32_e32 v31, v5, v31
	s_cbranch_scc1 .LBB1_340
	s_branch .LBB1_343
.LBB1_341:                              ;   in Loop: Header=BB1_290 Depth=2
	s_branch .LBB1_344
.LBB1_342:                              ;   in Loop: Header=BB1_290 Depth=2
	v_pk_mov_b32 v[30:31], 0, 0
.LBB1_343:                              ;   in Loop: Header=BB1_290 Depth=2
	s_cbranch_execnz .LBB1_345
.LBB1_344:                              ;   in Loop: Header=BB1_290 Depth=2
	global_load_dwordx2 v[30:31], v3, s[0:1]
.LBB1_345:                              ;   in Loop: Header=BB1_290 Depth=2
	v_readfirstlane_b32 s0, v38
	v_cmp_eq_u32_e64 s[0:1], s0, v38
	v_pk_mov_b32 v[4:5], 0, 0
	s_and_saveexec_b64 s[18:19], s[0:1]
	s_cbranch_execz .LBB1_351
; %bb.346:                              ;   in Loop: Header=BB1_290 Depth=2
	global_load_dwordx2 v[34:35], v3, s[2:3] offset:24 glc
	s_waitcnt vmcnt(0)
	buffer_invl2
	buffer_wbinvl1_vol
	global_load_dwordx2 v[4:5], v3, s[2:3] offset:40
	global_load_dwordx2 v[32:33], v3, s[2:3]
	s_waitcnt vmcnt(1)
	v_and_b32_e32 v2, v4, v34
	v_and_b32_e32 v4, v5, v35
	v_mul_lo_u32 v4, v4, 24
	v_mul_hi_u32 v5, v2, 24
	v_mul_lo_u32 v2, v2, 24
	v_add_u32_e32 v5, v5, v4
	s_waitcnt vmcnt(0)
	v_add_co_u32_e32 v4, vcc, v32, v2
	v_addc_co_u32_e32 v5, vcc, v33, v5, vcc
	global_load_dwordx2 v[32:33], v[4:5], off glc
	s_waitcnt vmcnt(0)
	global_atomic_cmpswap_x2 v[4:5], v3, v[32:35], s[2:3] offset:24 glc
	s_waitcnt vmcnt(0)
	buffer_invl2
	buffer_wbinvl1_vol
	v_cmp_ne_u64_e32 vcc, v[4:5], v[34:35]
	s_and_saveexec_b64 s[20:21], vcc
	s_cbranch_execz .LBB1_350
; %bb.347:                              ;   in Loop: Header=BB1_290 Depth=2
	s_mov_b64 s[22:23], 0
.LBB1_348:                              ;   Parent Loop BB1_261 Depth=1
                                        ;     Parent Loop BB1_290 Depth=2
                                        ; =>    This Inner Loop Header: Depth=3
	s_sleep 1
	global_load_dwordx2 v[32:33], v3, s[2:3] offset:40
	global_load_dwordx2 v[40:41], v3, s[2:3]
	v_pk_mov_b32 v[34:35], v[4:5], v[4:5] op_sel:[0,1]
	s_waitcnt vmcnt(1)
	v_and_b32_e32 v2, v32, v34
	s_waitcnt vmcnt(0)
	v_mad_u64_u32 v[4:5], s[24:25], v2, 24, v[40:41]
	v_and_b32_e32 v33, v33, v35
	v_mov_b32_e32 v2, v5
	v_mad_u64_u32 v[32:33], s[24:25], v33, 24, v[2:3]
	v_mov_b32_e32 v5, v32
	global_load_dwordx2 v[32:33], v[4:5], off glc
	s_waitcnt vmcnt(0)
	global_atomic_cmpswap_x2 v[4:5], v3, v[32:35], s[2:3] offset:24 glc
	s_waitcnt vmcnt(0)
	buffer_invl2
	buffer_wbinvl1_vol
	v_cmp_eq_u64_e32 vcc, v[4:5], v[34:35]
	s_or_b64 s[22:23], vcc, s[22:23]
	s_andn2_b64 exec, exec, s[22:23]
	s_cbranch_execnz .LBB1_348
; %bb.349:                              ;   in Loop: Header=BB1_290 Depth=2
	s_or_b64 exec, exec, s[22:23]
.LBB1_350:                              ;   in Loop: Header=BB1_290 Depth=2
	s_or_b64 exec, exec, s[20:21]
.LBB1_351:                              ;   in Loop: Header=BB1_290 Depth=2
	s_or_b64 exec, exec, s[18:19]
	global_load_dwordx2 v[40:41], v3, s[2:3] offset:40
	global_load_dwordx4 v[32:35], v3, s[2:3]
	v_readfirstlane_b32 s18, v4
	v_readfirstlane_b32 s19, v5
	s_mov_b64 s[20:21], exec
	s_waitcnt vmcnt(1)
	v_readfirstlane_b32 s22, v40
	v_readfirstlane_b32 s23, v41
	s_and_b64 s[22:23], s[18:19], s[22:23]
	s_mul_i32 s24, s23, 24
	s_mul_hi_u32 s25, s22, 24
	s_mul_i32 s29, s22, 24
	s_add_i32 s24, s25, s24
	v_mov_b32_e32 v2, s24
	s_waitcnt vmcnt(0)
	v_add_co_u32_e32 v40, vcc, s29, v32
	v_addc_co_u32_e32 v41, vcc, v33, v2, vcc
	s_and_saveexec_b64 s[24:25], s[0:1]
	s_cbranch_execz .LBB1_353
; %bb.352:                              ;   in Loop: Header=BB1_290 Depth=2
	v_pk_mov_b32 v[4:5], s[20:21], s[20:21] op_sel:[0,1]
	global_store_dwordx4 v[40:41], v[4:7], off offset:8
.LBB1_353:                              ;   in Loop: Header=BB1_290 Depth=2
	s_or_b64 exec, exec, s[24:25]
	s_lshl_b64 s[20:21], s[22:23], 12
	v_mov_b32_e32 v2, s21
	v_add_co_u32_e32 v4, vcc, s20, v34
	v_addc_co_u32_e32 v5, vcc, v35, v2, vcc
	v_or_b32_e32 v2, 0, v17
	v_or_b32_e32 v34, v16, v36
	v_cmp_gt_u64_e64 vcc, s[14:15], 56
	s_lshl_b32 s20, s16, 2
	v_cndmask_b32_e32 v17, v2, v17, vcc
	v_cndmask_b32_e32 v2, v34, v16, vcc
	s_add_i32 s20, s20, 28
	s_and_b32 s20, s20, 0x1e0
	v_and_b32_e32 v2, 0xffffff1f, v2
	v_or_b32_e32 v16, s20, v2
	v_readfirstlane_b32 s20, v4
	v_readfirstlane_b32 s21, v5
	s_nop 4
	global_store_dwordx4 v39, v[16:19], s[20:21]
	global_store_dwordx4 v39, v[20:23], s[20:21] offset:16
	global_store_dwordx4 v39, v[24:27], s[20:21] offset:32
	;; [unrolled: 1-line block ×3, first 2 shown]
	s_and_saveexec_b64 s[20:21], s[0:1]
	s_cbranch_execz .LBB1_361
; %bb.354:                              ;   in Loop: Header=BB1_290 Depth=2
	global_load_dwordx2 v[24:25], v3, s[2:3] offset:32 glc
	global_load_dwordx2 v[16:17], v3, s[2:3] offset:40
	v_mov_b32_e32 v22, s18
	v_mov_b32_e32 v23, s19
	s_waitcnt vmcnt(0)
	v_readfirstlane_b32 s22, v16
	v_readfirstlane_b32 s23, v17
	s_and_b64 s[22:23], s[22:23], s[18:19]
	s_mul_i32 s23, s23, 24
	s_mul_hi_u32 s24, s22, 24
	s_mul_i32 s22, s22, 24
	s_add_i32 s23, s24, s23
	v_mov_b32_e32 v2, s23
	v_add_co_u32_e32 v20, vcc, s22, v32
	v_addc_co_u32_e32 v21, vcc, v33, v2, vcc
	global_store_dwordx2 v[20:21], v[24:25], off
	buffer_wbl2
	s_waitcnt vmcnt(0)
	global_atomic_cmpswap_x2 v[18:19], v3, v[22:25], s[2:3] offset:32 glc
	s_waitcnt vmcnt(0)
	v_cmp_ne_u64_e32 vcc, v[18:19], v[24:25]
	s_and_saveexec_b64 s[22:23], vcc
	s_cbranch_execz .LBB1_357
; %bb.355:                              ;   in Loop: Header=BB1_290 Depth=2
	s_mov_b64 s[24:25], 0
.LBB1_356:                              ;   Parent Loop BB1_261 Depth=1
                                        ;     Parent Loop BB1_290 Depth=2
                                        ; =>    This Inner Loop Header: Depth=3
	s_sleep 1
	global_store_dwordx2 v[20:21], v[18:19], off
	v_mov_b32_e32 v16, s18
	v_mov_b32_e32 v17, s19
	buffer_wbl2
	s_waitcnt vmcnt(0)
	global_atomic_cmpswap_x2 v[16:17], v3, v[16:19], s[2:3] offset:32 glc
	s_waitcnt vmcnt(0)
	v_cmp_eq_u64_e32 vcc, v[16:17], v[18:19]
	s_or_b64 s[24:25], vcc, s[24:25]
	v_pk_mov_b32 v[18:19], v[16:17], v[16:17] op_sel:[0,1]
	s_andn2_b64 exec, exec, s[24:25]
	s_cbranch_execnz .LBB1_356
.LBB1_357:                              ;   in Loop: Header=BB1_290 Depth=2
	s_or_b64 exec, exec, s[22:23]
	global_load_dwordx2 v[16:17], v3, s[2:3] offset:16
	s_mov_b64 s[24:25], exec
	v_mbcnt_lo_u32_b32 v2, s24, 0
	v_mbcnt_hi_u32_b32 v2, s25, v2
	v_cmp_eq_u32_e32 vcc, 0, v2
	s_and_saveexec_b64 s[22:23], vcc
	s_cbranch_execz .LBB1_359
; %bb.358:                              ;   in Loop: Header=BB1_290 Depth=2
	s_bcnt1_i32_b64 s24, s[24:25]
	v_mov_b32_e32 v2, s24
	buffer_wbl2
	s_waitcnt vmcnt(0)
	global_atomic_add_x2 v[16:17], v[2:3], off offset:8
.LBB1_359:                              ;   in Loop: Header=BB1_290 Depth=2
	s_or_b64 exec, exec, s[22:23]
	s_waitcnt vmcnt(0)
	global_load_dwordx2 v[18:19], v[16:17], off offset:16
	s_waitcnt vmcnt(0)
	v_cmp_eq_u64_e32 vcc, 0, v[18:19]
	s_cbranch_vccnz .LBB1_361
; %bb.360:                              ;   in Loop: Header=BB1_290 Depth=2
	global_load_dword v2, v[16:17], off offset:24
	buffer_wbl2
	s_waitcnt vmcnt(0)
	global_store_dwordx2 v[18:19], v[2:3], off
	v_and_b32_e32 v2, 0xffffff, v2
	v_readfirstlane_b32 m0, v2
	s_sendmsg sendmsg(MSG_INTERRUPT)
.LBB1_361:                              ;   in Loop: Header=BB1_290 Depth=2
	s_or_b64 exec, exec, s[20:21]
	v_add_co_u32_e32 v4, vcc, v4, v39
	v_addc_co_u32_e32 v5, vcc, 0, v5, vcc
	s_branch .LBB1_365
.LBB1_362:                              ;   in Loop: Header=BB1_365 Depth=3
	s_or_b64 exec, exec, s[20:21]
	v_readfirstlane_b32 s20, v2
	s_cmp_eq_u32 s20, 0
	s_cbranch_scc1 .LBB1_364
; %bb.363:                              ;   in Loop: Header=BB1_365 Depth=3
	s_sleep 1
	s_cbranch_execnz .LBB1_365
	s_branch .LBB1_367
.LBB1_364:                              ;   in Loop: Header=BB1_290 Depth=2
	s_branch .LBB1_367
.LBB1_365:                              ;   Parent Loop BB1_261 Depth=1
                                        ;     Parent Loop BB1_290 Depth=2
                                        ; =>    This Inner Loop Header: Depth=3
	v_mov_b32_e32 v2, 1
	s_and_saveexec_b64 s[20:21], s[0:1]
	s_cbranch_execz .LBB1_362
; %bb.366:                              ;   in Loop: Header=BB1_365 Depth=3
	global_load_dword v2, v[40:41], off offset:20 glc
	s_waitcnt vmcnt(0)
	buffer_invl2
	buffer_wbinvl1_vol
	v_and_b32_e32 v2, 1, v2
	s_branch .LBB1_362
.LBB1_367:                              ;   in Loop: Header=BB1_290 Depth=2
	global_load_dwordx4 v[16:19], v[4:5], off
	s_and_saveexec_b64 s[20:21], s[0:1]
	s_cbranch_execz .LBB1_289
; %bb.368:                              ;   in Loop: Header=BB1_290 Depth=2
	global_load_dwordx2 v[4:5], v3, s[2:3] offset:40
	global_load_dwordx2 v[22:23], v3, s[2:3] offset:24 glc
	global_load_dwordx2 v[24:25], v3, s[2:3]
	v_mov_b32_e32 v2, s19
	s_waitcnt vmcnt(2)
	v_add_co_u32_e32 v21, vcc, 1, v4
	v_addc_co_u32_e32 v26, vcc, 0, v5, vcc
	v_add_co_u32_e32 v18, vcc, s18, v21
	v_addc_co_u32_e32 v19, vcc, v26, v2, vcc
	v_cmp_eq_u64_e32 vcc, 0, v[18:19]
	v_cndmask_b32_e32 v19, v19, v26, vcc
	v_cndmask_b32_e32 v18, v18, v21, vcc
	v_and_b32_e32 v2, v19, v5
	v_and_b32_e32 v4, v18, v4
	v_mul_lo_u32 v2, v2, 24
	v_mul_hi_u32 v5, v4, 24
	v_mul_lo_u32 v4, v4, 24
	v_add_u32_e32 v2, v5, v2
	s_waitcnt vmcnt(0)
	v_add_co_u32_e32 v4, vcc, v24, v4
	v_addc_co_u32_e32 v5, vcc, v25, v2, vcc
	v_mov_b32_e32 v20, v22
	global_store_dwordx2 v[4:5], v[22:23], off
	v_mov_b32_e32 v21, v23
	buffer_wbl2
	s_waitcnt vmcnt(0)
	global_atomic_cmpswap_x2 v[20:21], v3, v[18:21], s[2:3] offset:24 glc
	s_waitcnt vmcnt(0)
	v_cmp_ne_u64_e32 vcc, v[20:21], v[22:23]
	s_and_b64 exec, exec, vcc
	s_cbranch_execz .LBB1_289
; %bb.369:                              ;   in Loop: Header=BB1_290 Depth=2
	s_mov_b64 s[0:1], 0
.LBB1_370:                              ;   Parent Loop BB1_261 Depth=1
                                        ;     Parent Loop BB1_290 Depth=2
                                        ; =>    This Inner Loop Header: Depth=3
	s_sleep 1
	global_store_dwordx2 v[4:5], v[20:21], off
	buffer_wbl2
	s_waitcnt vmcnt(0)
	global_atomic_cmpswap_x2 v[22:23], v3, v[18:21], s[2:3] offset:24 glc
	s_waitcnt vmcnt(0)
	v_cmp_eq_u64_e32 vcc, v[22:23], v[20:21]
	s_or_b64 s[0:1], vcc, s[0:1]
	v_pk_mov_b32 v[20:21], v[22:23], v[22:23] op_sel:[0,1]
	s_andn2_b64 exec, exec, s[0:1]
	s_cbranch_execnz .LBB1_370
	s_branch .LBB1_289
.LBB1_371:                              ;   in Loop: Header=BB1_261 Depth=1
.LBB1_372:                              ;   in Loop: Header=BB1_261 Depth=1
	s_and_b64 vcc, exec, s[10:11]
	s_cbranch_vccz .LBB1_485
.LBB1_373:                              ;   in Loop: Header=BB1_261 Depth=1
	s_waitcnt vmcnt(0)
	v_and_b32_e32 v18, -3, v16
	v_mov_b32_e32 v19, v17
	s_mov_b64 s[14:15], 56
	s_getpc_b64 s[12:13]
	s_add_u32 s12, s12, .str.2@rel32@lo+4
	s_addc_u32 s13, s13, .str.2@rel32@hi+12
	s_branch .LBB1_375
.LBB1_374:                              ;   in Loop: Header=BB1_375 Depth=2
	s_or_b64 exec, exec, s[20:21]
	s_sub_u32 s14, s14, s16
	s_subb_u32 s15, s15, s17
	s_add_u32 s12, s12, s16
	s_addc_u32 s13, s13, s17
	s_cmp_lg_u64 s[14:15], 0
	s_cbranch_scc0 .LBB1_456
.LBB1_375:                              ;   Parent Loop BB1_261 Depth=1
                                        ; =>  This Loop Header: Depth=2
                                        ;       Child Loop BB1_378 Depth 3
                                        ;       Child Loop BB1_385 Depth 3
	;; [unrolled: 1-line block ×11, first 2 shown]
	v_cmp_lt_u64_e64 s[0:1], s[14:15], 56
	s_and_b64 s[0:1], s[0:1], exec
	v_cmp_gt_u64_e64 s[0:1], s[14:15], 7
	s_cselect_b32 s17, s15, 0
	s_cselect_b32 s16, s14, 56
	s_and_b64 vcc, exec, s[0:1]
	s_cbranch_vccnz .LBB1_380
; %bb.376:                              ;   in Loop: Header=BB1_375 Depth=2
	s_mov_b64 s[0:1], 0
	s_cmp_eq_u64 s[14:15], 0
	s_waitcnt vmcnt(0)
	v_pk_mov_b32 v[20:21], 0, 0
	s_cbranch_scc1 .LBB1_379
; %bb.377:                              ;   in Loop: Header=BB1_375 Depth=2
	s_lshl_b64 s[18:19], s[16:17], 3
	s_mov_b64 s[20:21], 0
	v_pk_mov_b32 v[20:21], 0, 0
	s_mov_b64 s[22:23], s[12:13]
.LBB1_378:                              ;   Parent Loop BB1_261 Depth=1
                                        ;     Parent Loop BB1_375 Depth=2
                                        ; =>    This Inner Loop Header: Depth=3
	global_load_ubyte v0, v3, s[22:23]
	s_waitcnt vmcnt(0)
	v_and_b32_e32 v2, 0xffff, v0
	v_lshlrev_b64 v[0:1], s20, v[2:3]
	s_add_u32 s20, s20, 8
	s_addc_u32 s21, s21, 0
	s_add_u32 s22, s22, 1
	s_addc_u32 s23, s23, 0
	v_or_b32_e32 v20, v0, v20
	s_cmp_lg_u32 s18, s20
	v_or_b32_e32 v21, v1, v21
	s_cbranch_scc1 .LBB1_378
.LBB1_379:                              ;   in Loop: Header=BB1_375 Depth=2
	s_mov_b32 s22, 0
	s_andn2_b64 vcc, exec, s[0:1]
	s_mov_b64 s[0:1], s[12:13]
	s_cbranch_vccz .LBB1_381
	s_branch .LBB1_382
.LBB1_380:                              ;   in Loop: Header=BB1_375 Depth=2
                                        ; implicit-def: $sgpr22
	s_mov_b64 s[0:1], s[12:13]
.LBB1_381:                              ;   in Loop: Header=BB1_375 Depth=2
	global_load_dwordx2 v[20:21], v3, s[12:13]
	s_add_i32 s22, s16, -8
	s_add_u32 s0, s12, 8
	s_addc_u32 s1, s13, 0
.LBB1_382:                              ;   in Loop: Header=BB1_375 Depth=2
	s_cmp_gt_u32 s22, 7
	s_cbranch_scc1 .LBB1_386
; %bb.383:                              ;   in Loop: Header=BB1_375 Depth=2
	s_cmp_eq_u32 s22, 0
	s_cbranch_scc1 .LBB1_387
; %bb.384:                              ;   in Loop: Header=BB1_375 Depth=2
	s_mov_b64 s[18:19], 0
	v_pk_mov_b32 v[22:23], 0, 0
	s_mov_b64 s[20:21], 0
.LBB1_385:                              ;   Parent Loop BB1_261 Depth=1
                                        ;     Parent Loop BB1_375 Depth=2
                                        ; =>    This Inner Loop Header: Depth=3
	s_add_u32 s24, s0, s20
	s_addc_u32 s25, s1, s21
	global_load_ubyte v0, v3, s[24:25]
	s_add_u32 s20, s20, 1
	s_addc_u32 s21, s21, 0
	s_waitcnt vmcnt(0)
	v_and_b32_e32 v2, 0xffff, v0
	v_lshlrev_b64 v[0:1], s18, v[2:3]
	s_add_u32 s18, s18, 8
	s_addc_u32 s19, s19, 0
	v_or_b32_e32 v22, v0, v22
	s_cmp_lg_u32 s22, s20
	v_or_b32_e32 v23, v1, v23
	s_cbranch_scc1 .LBB1_385
	s_branch .LBB1_388
.LBB1_386:                              ;   in Loop: Header=BB1_375 Depth=2
                                        ; implicit-def: $vgpr22_vgpr23
                                        ; implicit-def: $sgpr23
	s_branch .LBB1_389
.LBB1_387:                              ;   in Loop: Header=BB1_375 Depth=2
	v_pk_mov_b32 v[22:23], 0, 0
.LBB1_388:                              ;   in Loop: Header=BB1_375 Depth=2
	s_mov_b32 s23, 0
	s_cbranch_execnz .LBB1_390
.LBB1_389:                              ;   in Loop: Header=BB1_375 Depth=2
	global_load_dwordx2 v[22:23], v3, s[0:1]
	s_add_i32 s23, s22, -8
	s_add_u32 s0, s0, 8
	s_addc_u32 s1, s1, 0
.LBB1_390:                              ;   in Loop: Header=BB1_375 Depth=2
	s_cmp_gt_u32 s23, 7
	s_cbranch_scc1 .LBB1_394
; %bb.391:                              ;   in Loop: Header=BB1_375 Depth=2
	s_cmp_eq_u32 s23, 0
	s_cbranch_scc1 .LBB1_395
; %bb.392:                              ;   in Loop: Header=BB1_375 Depth=2
	s_mov_b64 s[18:19], 0
	v_pk_mov_b32 v[24:25], 0, 0
	s_mov_b64 s[20:21], 0
.LBB1_393:                              ;   Parent Loop BB1_261 Depth=1
                                        ;     Parent Loop BB1_375 Depth=2
                                        ; =>    This Inner Loop Header: Depth=3
	s_add_u32 s24, s0, s20
	s_addc_u32 s25, s1, s21
	global_load_ubyte v0, v3, s[24:25]
	s_add_u32 s20, s20, 1
	s_addc_u32 s21, s21, 0
	s_waitcnt vmcnt(0)
	v_and_b32_e32 v2, 0xffff, v0
	v_lshlrev_b64 v[0:1], s18, v[2:3]
	s_add_u32 s18, s18, 8
	s_addc_u32 s19, s19, 0
	v_or_b32_e32 v24, v0, v24
	s_cmp_lg_u32 s23, s20
	v_or_b32_e32 v25, v1, v25
	s_cbranch_scc1 .LBB1_393
	s_branch .LBB1_396
.LBB1_394:                              ;   in Loop: Header=BB1_375 Depth=2
                                        ; implicit-def: $sgpr22
	s_branch .LBB1_397
.LBB1_395:                              ;   in Loop: Header=BB1_375 Depth=2
	v_pk_mov_b32 v[24:25], 0, 0
.LBB1_396:                              ;   in Loop: Header=BB1_375 Depth=2
	s_mov_b32 s22, 0
	s_cbranch_execnz .LBB1_398
.LBB1_397:                              ;   in Loop: Header=BB1_375 Depth=2
	global_load_dwordx2 v[24:25], v3, s[0:1]
	s_add_i32 s22, s23, -8
	s_add_u32 s0, s0, 8
	s_addc_u32 s1, s1, 0
.LBB1_398:                              ;   in Loop: Header=BB1_375 Depth=2
	s_cmp_gt_u32 s22, 7
	s_cbranch_scc1 .LBB1_402
; %bb.399:                              ;   in Loop: Header=BB1_375 Depth=2
	s_cmp_eq_u32 s22, 0
	s_cbranch_scc1 .LBB1_403
; %bb.400:                              ;   in Loop: Header=BB1_375 Depth=2
	s_mov_b64 s[18:19], 0
	v_pk_mov_b32 v[26:27], 0, 0
	s_mov_b64 s[20:21], 0
.LBB1_401:                              ;   Parent Loop BB1_261 Depth=1
                                        ;     Parent Loop BB1_375 Depth=2
                                        ; =>    This Inner Loop Header: Depth=3
	s_add_u32 s24, s0, s20
	s_addc_u32 s25, s1, s21
	global_load_ubyte v0, v3, s[24:25]
	s_add_u32 s20, s20, 1
	s_addc_u32 s21, s21, 0
	s_waitcnt vmcnt(0)
	v_and_b32_e32 v2, 0xffff, v0
	v_lshlrev_b64 v[0:1], s18, v[2:3]
	s_add_u32 s18, s18, 8
	s_addc_u32 s19, s19, 0
	v_or_b32_e32 v26, v0, v26
	s_cmp_lg_u32 s22, s20
	v_or_b32_e32 v27, v1, v27
	s_cbranch_scc1 .LBB1_401
	s_branch .LBB1_404
.LBB1_402:                              ;   in Loop: Header=BB1_375 Depth=2
                                        ; implicit-def: $vgpr26_vgpr27
                                        ; implicit-def: $sgpr23
	s_branch .LBB1_405
.LBB1_403:                              ;   in Loop: Header=BB1_375 Depth=2
	v_pk_mov_b32 v[26:27], 0, 0
.LBB1_404:                              ;   in Loop: Header=BB1_375 Depth=2
	s_mov_b32 s23, 0
	s_cbranch_execnz .LBB1_406
.LBB1_405:                              ;   in Loop: Header=BB1_375 Depth=2
	global_load_dwordx2 v[26:27], v3, s[0:1]
	s_add_i32 s23, s22, -8
	s_add_u32 s0, s0, 8
	s_addc_u32 s1, s1, 0
.LBB1_406:                              ;   in Loop: Header=BB1_375 Depth=2
	s_cmp_gt_u32 s23, 7
	s_cbranch_scc1 .LBB1_410
; %bb.407:                              ;   in Loop: Header=BB1_375 Depth=2
	s_cmp_eq_u32 s23, 0
	s_cbranch_scc1 .LBB1_411
; %bb.408:                              ;   in Loop: Header=BB1_375 Depth=2
	s_mov_b64 s[18:19], 0
	v_pk_mov_b32 v[28:29], 0, 0
	s_mov_b64 s[20:21], 0
.LBB1_409:                              ;   Parent Loop BB1_261 Depth=1
                                        ;     Parent Loop BB1_375 Depth=2
                                        ; =>    This Inner Loop Header: Depth=3
	s_add_u32 s24, s0, s20
	s_addc_u32 s25, s1, s21
	global_load_ubyte v0, v3, s[24:25]
	s_add_u32 s20, s20, 1
	s_addc_u32 s21, s21, 0
	s_waitcnt vmcnt(0)
	v_and_b32_e32 v2, 0xffff, v0
	v_lshlrev_b64 v[0:1], s18, v[2:3]
	s_add_u32 s18, s18, 8
	s_addc_u32 s19, s19, 0
	v_or_b32_e32 v28, v0, v28
	s_cmp_lg_u32 s23, s20
	v_or_b32_e32 v29, v1, v29
	s_cbranch_scc1 .LBB1_409
	s_branch .LBB1_412
.LBB1_410:                              ;   in Loop: Header=BB1_375 Depth=2
                                        ; implicit-def: $sgpr22
	s_branch .LBB1_413
.LBB1_411:                              ;   in Loop: Header=BB1_375 Depth=2
	v_pk_mov_b32 v[28:29], 0, 0
.LBB1_412:                              ;   in Loop: Header=BB1_375 Depth=2
	s_mov_b32 s22, 0
	s_cbranch_execnz .LBB1_414
.LBB1_413:                              ;   in Loop: Header=BB1_375 Depth=2
	global_load_dwordx2 v[28:29], v3, s[0:1]
	s_add_i32 s22, s23, -8
	s_add_u32 s0, s0, 8
	s_addc_u32 s1, s1, 0
.LBB1_414:                              ;   in Loop: Header=BB1_375 Depth=2
	s_cmp_gt_u32 s22, 7
	s_cbranch_scc1 .LBB1_418
; %bb.415:                              ;   in Loop: Header=BB1_375 Depth=2
	s_cmp_eq_u32 s22, 0
	s_cbranch_scc1 .LBB1_419
; %bb.416:                              ;   in Loop: Header=BB1_375 Depth=2
	s_mov_b64 s[18:19], 0
	v_pk_mov_b32 v[30:31], 0, 0
	s_mov_b64 s[20:21], 0
.LBB1_417:                              ;   Parent Loop BB1_261 Depth=1
                                        ;     Parent Loop BB1_375 Depth=2
                                        ; =>    This Inner Loop Header: Depth=3
	s_add_u32 s24, s0, s20
	s_addc_u32 s25, s1, s21
	global_load_ubyte v0, v3, s[24:25]
	s_add_u32 s20, s20, 1
	s_addc_u32 s21, s21, 0
	s_waitcnt vmcnt(0)
	v_and_b32_e32 v2, 0xffff, v0
	v_lshlrev_b64 v[0:1], s18, v[2:3]
	s_add_u32 s18, s18, 8
	s_addc_u32 s19, s19, 0
	v_or_b32_e32 v30, v0, v30
	s_cmp_lg_u32 s22, s20
	v_or_b32_e32 v31, v1, v31
	s_cbranch_scc1 .LBB1_417
	s_branch .LBB1_420
.LBB1_418:                              ;   in Loop: Header=BB1_375 Depth=2
                                        ; implicit-def: $vgpr30_vgpr31
                                        ; implicit-def: $sgpr23
	s_branch .LBB1_421
.LBB1_419:                              ;   in Loop: Header=BB1_375 Depth=2
	v_pk_mov_b32 v[30:31], 0, 0
.LBB1_420:                              ;   in Loop: Header=BB1_375 Depth=2
	s_mov_b32 s23, 0
	s_cbranch_execnz .LBB1_422
.LBB1_421:                              ;   in Loop: Header=BB1_375 Depth=2
	global_load_dwordx2 v[30:31], v3, s[0:1]
	s_add_i32 s23, s22, -8
	s_add_u32 s0, s0, 8
	s_addc_u32 s1, s1, 0
.LBB1_422:                              ;   in Loop: Header=BB1_375 Depth=2
	s_cmp_gt_u32 s23, 7
	s_cbranch_scc1 .LBB1_426
; %bb.423:                              ;   in Loop: Header=BB1_375 Depth=2
	s_cmp_eq_u32 s23, 0
	s_cbranch_scc1 .LBB1_427
; %bb.424:                              ;   in Loop: Header=BB1_375 Depth=2
	s_mov_b64 s[18:19], 0
	v_pk_mov_b32 v[32:33], 0, 0
	s_mov_b64 s[20:21], s[0:1]
.LBB1_425:                              ;   Parent Loop BB1_261 Depth=1
                                        ;     Parent Loop BB1_375 Depth=2
                                        ; =>    This Inner Loop Header: Depth=3
	global_load_ubyte v0, v3, s[20:21]
	s_add_i32 s23, s23, -1
	s_waitcnt vmcnt(0)
	v_and_b32_e32 v2, 0xffff, v0
	v_lshlrev_b64 v[0:1], s18, v[2:3]
	s_add_u32 s18, s18, 8
	s_addc_u32 s19, s19, 0
	s_add_u32 s20, s20, 1
	s_addc_u32 s21, s21, 0
	v_or_b32_e32 v32, v0, v32
	s_cmp_lg_u32 s23, 0
	v_or_b32_e32 v33, v1, v33
	s_cbranch_scc1 .LBB1_425
	s_branch .LBB1_428
.LBB1_426:                              ;   in Loop: Header=BB1_375 Depth=2
	s_branch .LBB1_429
.LBB1_427:                              ;   in Loop: Header=BB1_375 Depth=2
	v_pk_mov_b32 v[32:33], 0, 0
.LBB1_428:                              ;   in Loop: Header=BB1_375 Depth=2
	s_cbranch_execnz .LBB1_430
.LBB1_429:                              ;   in Loop: Header=BB1_375 Depth=2
	global_load_dwordx2 v[32:33], v3, s[0:1]
.LBB1_430:                              ;   in Loop: Header=BB1_375 Depth=2
	v_readfirstlane_b32 s0, v38
	v_cmp_eq_u32_e64 s[0:1], s0, v38
	v_pk_mov_b32 v[0:1], 0, 0
	s_and_saveexec_b64 s[18:19], s[0:1]
	s_cbranch_execz .LBB1_436
; %bb.431:                              ;   in Loop: Header=BB1_375 Depth=2
	global_load_dwordx2 v[36:37], v3, s[2:3] offset:24 glc
	s_waitcnt vmcnt(0)
	buffer_invl2
	buffer_wbinvl1_vol
	global_load_dwordx2 v[0:1], v3, s[2:3] offset:40
	global_load_dwordx2 v[4:5], v3, s[2:3]
	s_waitcnt vmcnt(1)
	v_and_b32_e32 v0, v0, v36
	v_and_b32_e32 v1, v1, v37
	v_mul_lo_u32 v1, v1, 24
	v_mul_hi_u32 v2, v0, 24
	v_mul_lo_u32 v0, v0, 24
	v_add_u32_e32 v1, v2, v1
	s_waitcnt vmcnt(0)
	v_add_co_u32_e32 v0, vcc, v4, v0
	v_addc_co_u32_e32 v1, vcc, v5, v1, vcc
	global_load_dwordx2 v[34:35], v[0:1], off glc
	s_waitcnt vmcnt(0)
	global_atomic_cmpswap_x2 v[0:1], v3, v[34:37], s[2:3] offset:24 glc
	s_waitcnt vmcnt(0)
	buffer_invl2
	buffer_wbinvl1_vol
	v_cmp_ne_u64_e32 vcc, v[0:1], v[36:37]
	s_and_saveexec_b64 s[20:21], vcc
	s_cbranch_execz .LBB1_435
; %bb.432:                              ;   in Loop: Header=BB1_375 Depth=2
	s_mov_b64 s[22:23], 0
.LBB1_433:                              ;   Parent Loop BB1_261 Depth=1
                                        ;     Parent Loop BB1_375 Depth=2
                                        ; =>    This Inner Loop Header: Depth=3
	s_sleep 1
	global_load_dwordx2 v[4:5], v3, s[2:3] offset:40
	global_load_dwordx2 v[34:35], v3, s[2:3]
	v_pk_mov_b32 v[36:37], v[0:1], v[0:1] op_sel:[0,1]
	s_waitcnt vmcnt(1)
	v_and_b32_e32 v0, v4, v36
	s_waitcnt vmcnt(0)
	v_mad_u64_u32 v[0:1], s[24:25], v0, 24, v[34:35]
	v_and_b32_e32 v5, v5, v37
	v_mov_b32_e32 v2, v1
	v_mad_u64_u32 v[4:5], s[24:25], v5, 24, v[2:3]
	v_mov_b32_e32 v1, v4
	global_load_dwordx2 v[34:35], v[0:1], off glc
	s_waitcnt vmcnt(0)
	global_atomic_cmpswap_x2 v[0:1], v3, v[34:37], s[2:3] offset:24 glc
	s_waitcnt vmcnt(0)
	buffer_invl2
	buffer_wbinvl1_vol
	v_cmp_eq_u64_e32 vcc, v[0:1], v[36:37]
	s_or_b64 s[22:23], vcc, s[22:23]
	s_andn2_b64 exec, exec, s[22:23]
	s_cbranch_execnz .LBB1_433
; %bb.434:                              ;   in Loop: Header=BB1_375 Depth=2
	s_or_b64 exec, exec, s[22:23]
.LBB1_435:                              ;   in Loop: Header=BB1_375 Depth=2
	s_or_b64 exec, exec, s[20:21]
.LBB1_436:                              ;   in Loop: Header=BB1_375 Depth=2
	s_or_b64 exec, exec, s[18:19]
	global_load_dwordx2 v[4:5], v3, s[2:3] offset:40
	global_load_dwordx4 v[34:37], v3, s[2:3]
	v_readfirstlane_b32 s18, v0
	v_readfirstlane_b32 s19, v1
	s_mov_b64 s[20:21], exec
	s_waitcnt vmcnt(1)
	v_readfirstlane_b32 s22, v4
	v_readfirstlane_b32 s23, v5
	s_and_b64 s[22:23], s[18:19], s[22:23]
	s_mul_i32 s24, s23, 24
	s_mul_hi_u32 s25, s22, 24
	s_mul_i32 s29, s22, 24
	s_add_i32 s24, s25, s24
	v_mov_b32_e32 v1, s24
	s_waitcnt vmcnt(0)
	v_add_co_u32_e32 v0, vcc, s29, v34
	v_addc_co_u32_e32 v1, vcc, v35, v1, vcc
	s_and_saveexec_b64 s[24:25], s[0:1]
	s_cbranch_execz .LBB1_438
; %bb.437:                              ;   in Loop: Header=BB1_375 Depth=2
	v_pk_mov_b32 v[4:5], s[20:21], s[20:21] op_sel:[0,1]
	global_store_dwordx4 v[0:1], v[4:7], off offset:8
.LBB1_438:                              ;   in Loop: Header=BB1_375 Depth=2
	s_or_b64 exec, exec, s[24:25]
	s_lshl_b64 s[20:21], s[22:23], 12
	v_mov_b32_e32 v2, s21
	v_add_co_u32_e32 v4, vcc, s20, v36
	v_addc_co_u32_e32 v5, vcc, v37, v2, vcc
	v_or_b32_e32 v2, 2, v18
	v_cmp_gt_u64_e64 vcc, s[14:15], 56
	s_lshl_b32 s20, s16, 2
	v_cndmask_b32_e32 v2, v2, v18, vcc
	s_add_i32 s20, s20, 28
	s_and_b32 s20, s20, 0x1e0
	v_and_b32_e32 v2, 0xffffff1f, v2
	v_or_b32_e32 v18, s20, v2
	v_readfirstlane_b32 s20, v4
	v_readfirstlane_b32 s21, v5
	s_nop 4
	global_store_dwordx4 v39, v[18:21], s[20:21]
	global_store_dwordx4 v39, v[22:25], s[20:21] offset:16
	global_store_dwordx4 v39, v[26:29], s[20:21] offset:32
	;; [unrolled: 1-line block ×3, first 2 shown]
	s_and_saveexec_b64 s[20:21], s[0:1]
	s_cbranch_execz .LBB1_446
; %bb.439:                              ;   in Loop: Header=BB1_375 Depth=2
	global_load_dwordx2 v[26:27], v3, s[2:3] offset:32 glc
	global_load_dwordx2 v[18:19], v3, s[2:3] offset:40
	v_mov_b32_e32 v24, s18
	v_mov_b32_e32 v25, s19
	s_waitcnt vmcnt(0)
	v_readfirstlane_b32 s22, v18
	v_readfirstlane_b32 s23, v19
	s_and_b64 s[22:23], s[22:23], s[18:19]
	s_mul_i32 s23, s23, 24
	s_mul_hi_u32 s24, s22, 24
	s_mul_i32 s22, s22, 24
	s_add_i32 s23, s24, s23
	v_mov_b32_e32 v2, s23
	v_add_co_u32_e32 v22, vcc, s22, v34
	v_addc_co_u32_e32 v23, vcc, v35, v2, vcc
	global_store_dwordx2 v[22:23], v[26:27], off
	buffer_wbl2
	s_waitcnt vmcnt(0)
	global_atomic_cmpswap_x2 v[20:21], v3, v[24:27], s[2:3] offset:32 glc
	s_waitcnt vmcnt(0)
	v_cmp_ne_u64_e32 vcc, v[20:21], v[26:27]
	s_and_saveexec_b64 s[22:23], vcc
	s_cbranch_execz .LBB1_442
; %bb.440:                              ;   in Loop: Header=BB1_375 Depth=2
	s_mov_b64 s[24:25], 0
.LBB1_441:                              ;   Parent Loop BB1_261 Depth=1
                                        ;     Parent Loop BB1_375 Depth=2
                                        ; =>    This Inner Loop Header: Depth=3
	s_sleep 1
	global_store_dwordx2 v[22:23], v[20:21], off
	v_mov_b32_e32 v18, s18
	v_mov_b32_e32 v19, s19
	buffer_wbl2
	s_waitcnt vmcnt(0)
	global_atomic_cmpswap_x2 v[18:19], v3, v[18:21], s[2:3] offset:32 glc
	s_waitcnt vmcnt(0)
	v_cmp_eq_u64_e32 vcc, v[18:19], v[20:21]
	s_or_b64 s[24:25], vcc, s[24:25]
	v_pk_mov_b32 v[20:21], v[18:19], v[18:19] op_sel:[0,1]
	s_andn2_b64 exec, exec, s[24:25]
	s_cbranch_execnz .LBB1_441
.LBB1_442:                              ;   in Loop: Header=BB1_375 Depth=2
	s_or_b64 exec, exec, s[22:23]
	global_load_dwordx2 v[18:19], v3, s[2:3] offset:16
	s_mov_b64 s[24:25], exec
	v_mbcnt_lo_u32_b32 v2, s24, 0
	v_mbcnt_hi_u32_b32 v2, s25, v2
	v_cmp_eq_u32_e32 vcc, 0, v2
	s_and_saveexec_b64 s[22:23], vcc
	s_cbranch_execz .LBB1_444
; %bb.443:                              ;   in Loop: Header=BB1_375 Depth=2
	s_bcnt1_i32_b64 s24, s[24:25]
	v_mov_b32_e32 v2, s24
	buffer_wbl2
	s_waitcnt vmcnt(0)
	global_atomic_add_x2 v[18:19], v[2:3], off offset:8
.LBB1_444:                              ;   in Loop: Header=BB1_375 Depth=2
	s_or_b64 exec, exec, s[22:23]
	s_waitcnt vmcnt(0)
	global_load_dwordx2 v[20:21], v[18:19], off offset:16
	s_waitcnt vmcnt(0)
	v_cmp_eq_u64_e32 vcc, 0, v[20:21]
	s_cbranch_vccnz .LBB1_446
; %bb.445:                              ;   in Loop: Header=BB1_375 Depth=2
	global_load_dword v2, v[18:19], off offset:24
	buffer_wbl2
	s_waitcnt vmcnt(0)
	global_store_dwordx2 v[20:21], v[2:3], off
	v_and_b32_e32 v2, 0xffffff, v2
	v_readfirstlane_b32 m0, v2
	s_sendmsg sendmsg(MSG_INTERRUPT)
.LBB1_446:                              ;   in Loop: Header=BB1_375 Depth=2
	s_or_b64 exec, exec, s[20:21]
	v_add_co_u32_e32 v4, vcc, v4, v39
	v_addc_co_u32_e32 v5, vcc, 0, v5, vcc
	s_branch .LBB1_450
.LBB1_447:                              ;   in Loop: Header=BB1_450 Depth=3
	s_or_b64 exec, exec, s[20:21]
	v_readfirstlane_b32 s20, v2
	s_cmp_eq_u32 s20, 0
	s_cbranch_scc1 .LBB1_449
; %bb.448:                              ;   in Loop: Header=BB1_450 Depth=3
	s_sleep 1
	s_cbranch_execnz .LBB1_450
	s_branch .LBB1_452
.LBB1_449:                              ;   in Loop: Header=BB1_375 Depth=2
	s_branch .LBB1_452
.LBB1_450:                              ;   Parent Loop BB1_261 Depth=1
                                        ;     Parent Loop BB1_375 Depth=2
                                        ; =>    This Inner Loop Header: Depth=3
	v_mov_b32_e32 v2, 1
	s_and_saveexec_b64 s[20:21], s[0:1]
	s_cbranch_execz .LBB1_447
; %bb.451:                              ;   in Loop: Header=BB1_450 Depth=3
	global_load_dword v2, v[0:1], off offset:20 glc
	s_waitcnt vmcnt(0)
	buffer_invl2
	buffer_wbinvl1_vol
	v_and_b32_e32 v2, 1, v2
	s_branch .LBB1_447
.LBB1_452:                              ;   in Loop: Header=BB1_375 Depth=2
	global_load_dwordx4 v[18:21], v[4:5], off
	s_and_saveexec_b64 s[20:21], s[0:1]
	s_cbranch_execz .LBB1_374
; %bb.453:                              ;   in Loop: Header=BB1_375 Depth=2
	global_load_dwordx2 v[0:1], v3, s[2:3] offset:40
	global_load_dwordx2 v[4:5], v3, s[2:3] offset:24 glc
	global_load_dwordx2 v[24:25], v3, s[2:3]
	v_mov_b32_e32 v2, s19
	s_waitcnt vmcnt(2)
	v_add_co_u32_e32 v23, vcc, 1, v0
	v_addc_co_u32_e32 v26, vcc, 0, v1, vcc
	v_add_co_u32_e32 v20, vcc, s18, v23
	v_addc_co_u32_e32 v21, vcc, v26, v2, vcc
	v_cmp_eq_u64_e32 vcc, 0, v[20:21]
	v_cndmask_b32_e32 v21, v21, v26, vcc
	v_cndmask_b32_e32 v20, v20, v23, vcc
	v_and_b32_e32 v1, v21, v1
	v_and_b32_e32 v0, v20, v0
	v_mul_lo_u32 v1, v1, 24
	v_mul_hi_u32 v2, v0, 24
	v_mul_lo_u32 v0, v0, 24
	v_add_u32_e32 v1, v2, v1
	s_waitcnt vmcnt(0)
	v_add_co_u32_e32 v0, vcc, v24, v0
	v_addc_co_u32_e32 v1, vcc, v25, v1, vcc
	v_mov_b32_e32 v22, v4
	global_store_dwordx2 v[0:1], v[4:5], off
	v_mov_b32_e32 v23, v5
	buffer_wbl2
	s_waitcnt vmcnt(0)
	global_atomic_cmpswap_x2 v[22:23], v3, v[20:23], s[2:3] offset:24 glc
	s_waitcnt vmcnt(0)
	v_cmp_ne_u64_e32 vcc, v[22:23], v[4:5]
	s_and_b64 exec, exec, vcc
	s_cbranch_execz .LBB1_374
; %bb.454:                              ;   in Loop: Header=BB1_375 Depth=2
	s_mov_b64 s[0:1], 0
.LBB1_455:                              ;   Parent Loop BB1_261 Depth=1
                                        ;     Parent Loop BB1_375 Depth=2
                                        ; =>    This Inner Loop Header: Depth=3
	s_sleep 1
	global_store_dwordx2 v[0:1], v[22:23], off
	buffer_wbl2
	s_waitcnt vmcnt(0)
	global_atomic_cmpswap_x2 v[4:5], v3, v[20:23], s[2:3] offset:24 glc
	s_waitcnt vmcnt(0)
	v_cmp_eq_u64_e32 vcc, v[4:5], v[22:23]
	s_or_b64 s[0:1], vcc, s[0:1]
	v_pk_mov_b32 v[22:23], v[4:5], v[4:5] op_sel:[0,1]
	s_andn2_b64 exec, exec, s[0:1]
	s_cbranch_execnz .LBB1_455
	s_branch .LBB1_374
.LBB1_456:                              ;   in Loop: Header=BB1_261 Depth=1
	s_branch .LBB1_260
.LBB1_457:                              ;   in Loop: Header=BB1_261 Depth=1
                                        ; implicit-def: $vgpr16_vgpr17
	s_cbranch_execz .LBB1_372
; %bb.458:                              ;   in Loop: Header=BB1_261 Depth=1
	v_readfirstlane_b32 s0, v38
	v_cmp_eq_u32_e64 s[0:1], s0, v38
	v_pk_mov_b32 v[4:5], 0, 0
	s_and_saveexec_b64 s[12:13], s[0:1]
	s_cbranch_execz .LBB1_464
; %bb.459:                              ;   in Loop: Header=BB1_261 Depth=1
	global_load_dwordx2 v[18:19], v3, s[2:3] offset:24 glc
	s_waitcnt vmcnt(0)
	buffer_invl2
	buffer_wbinvl1_vol
	global_load_dwordx2 v[4:5], v3, s[2:3] offset:40
	global_load_dwordx2 v[16:17], v3, s[2:3]
	s_waitcnt vmcnt(1)
	v_and_b32_e32 v2, v4, v18
	v_and_b32_e32 v4, v5, v19
	v_mul_lo_u32 v4, v4, 24
	v_mul_hi_u32 v5, v2, 24
	v_mul_lo_u32 v2, v2, 24
	v_add_u32_e32 v5, v5, v4
	s_waitcnt vmcnt(0)
	v_add_co_u32_e32 v4, vcc, v16, v2
	v_addc_co_u32_e32 v5, vcc, v17, v5, vcc
	global_load_dwordx2 v[16:17], v[4:5], off glc
	s_waitcnt vmcnt(0)
	global_atomic_cmpswap_x2 v[4:5], v3, v[16:19], s[2:3] offset:24 glc
	s_waitcnt vmcnt(0)
	buffer_invl2
	buffer_wbinvl1_vol
	v_cmp_ne_u64_e32 vcc, v[4:5], v[18:19]
	s_and_saveexec_b64 s[14:15], vcc
	s_cbranch_execz .LBB1_463
; %bb.460:                              ;   in Loop: Header=BB1_261 Depth=1
	s_mov_b64 s[16:17], 0
.LBB1_461:                              ;   Parent Loop BB1_261 Depth=1
                                        ; =>  This Inner Loop Header: Depth=2
	s_sleep 1
	global_load_dwordx2 v[16:17], v3, s[2:3] offset:40
	global_load_dwordx2 v[20:21], v3, s[2:3]
	v_pk_mov_b32 v[18:19], v[4:5], v[4:5] op_sel:[0,1]
	s_waitcnt vmcnt(1)
	v_and_b32_e32 v2, v16, v18
	s_waitcnt vmcnt(0)
	v_mad_u64_u32 v[4:5], s[18:19], v2, 24, v[20:21]
	v_and_b32_e32 v17, v17, v19
	v_mov_b32_e32 v2, v5
	v_mad_u64_u32 v[16:17], s[18:19], v17, 24, v[2:3]
	v_mov_b32_e32 v5, v16
	global_load_dwordx2 v[16:17], v[4:5], off glc
	s_waitcnt vmcnt(0)
	global_atomic_cmpswap_x2 v[4:5], v3, v[16:19], s[2:3] offset:24 glc
	s_waitcnt vmcnt(0)
	buffer_invl2
	buffer_wbinvl1_vol
	v_cmp_eq_u64_e32 vcc, v[4:5], v[18:19]
	s_or_b64 s[16:17], vcc, s[16:17]
	s_andn2_b64 exec, exec, s[16:17]
	s_cbranch_execnz .LBB1_461
; %bb.462:                              ;   in Loop: Header=BB1_261 Depth=1
	s_or_b64 exec, exec, s[16:17]
.LBB1_463:                              ;   in Loop: Header=BB1_261 Depth=1
	s_or_b64 exec, exec, s[14:15]
.LBB1_464:                              ;   in Loop: Header=BB1_261 Depth=1
	s_or_b64 exec, exec, s[12:13]
	global_load_dwordx2 v[20:21], v3, s[2:3] offset:40
	global_load_dwordx4 v[16:19], v3, s[2:3]
	v_readfirstlane_b32 s12, v4
	v_readfirstlane_b32 s13, v5
	s_mov_b64 s[14:15], exec
	s_waitcnt vmcnt(1)
	v_readfirstlane_b32 s16, v20
	v_readfirstlane_b32 s17, v21
	s_and_b64 s[16:17], s[12:13], s[16:17]
	s_mul_i32 s18, s17, 24
	s_mul_hi_u32 s19, s16, 24
	s_mul_i32 s20, s16, 24
	s_add_i32 s18, s19, s18
	v_mov_b32_e32 v2, s18
	s_waitcnt vmcnt(0)
	v_add_co_u32_e32 v20, vcc, s20, v16
	v_addc_co_u32_e32 v21, vcc, v17, v2, vcc
	s_and_saveexec_b64 s[18:19], s[0:1]
	s_cbranch_execz .LBB1_466
; %bb.465:                              ;   in Loop: Header=BB1_261 Depth=1
	v_pk_mov_b32 v[4:5], s[14:15], s[14:15] op_sel:[0,1]
	global_store_dwordx4 v[20:21], v[4:7], off offset:8
.LBB1_466:                              ;   in Loop: Header=BB1_261 Depth=1
	s_or_b64 exec, exec, s[18:19]
	s_lshl_b64 s[14:15], s[16:17], 12
	v_mov_b32_e32 v2, s15
	v_add_co_u32_e32 v4, vcc, s14, v18
	v_addc_co_u32_e32 v5, vcc, v19, v2, vcc
	v_pk_mov_b32 v[24:25], s[6:7], s[6:7] op_sel:[0,1]
	v_and_or_b32 v0, v0, s26, 32
	v_mov_b32_e32 v2, v3
	v_readfirstlane_b32 s14, v4
	v_readfirstlane_b32 s15, v5
	v_pk_mov_b32 v[22:23], s[4:5], s[4:5] op_sel:[0,1]
	s_nop 3
	global_store_dwordx4 v39, v[0:3], s[14:15]
	global_store_dwordx4 v39, v[22:25], s[14:15] offset:16
	global_store_dwordx4 v39, v[22:25], s[14:15] offset:32
	;; [unrolled: 1-line block ×3, first 2 shown]
	s_and_saveexec_b64 s[14:15], s[0:1]
	s_cbranch_execz .LBB1_474
; %bb.467:                              ;   in Loop: Header=BB1_261 Depth=1
	global_load_dwordx2 v[24:25], v3, s[2:3] offset:32 glc
	global_load_dwordx2 v[0:1], v3, s[2:3] offset:40
	v_mov_b32_e32 v22, s12
	v_mov_b32_e32 v23, s13
	s_waitcnt vmcnt(0)
	v_readfirstlane_b32 s16, v0
	v_readfirstlane_b32 s17, v1
	s_and_b64 s[16:17], s[16:17], s[12:13]
	s_mul_i32 s17, s17, 24
	s_mul_hi_u32 s18, s16, 24
	s_mul_i32 s16, s16, 24
	s_add_i32 s17, s18, s17
	v_mov_b32_e32 v1, s17
	v_add_co_u32_e32 v0, vcc, s16, v16
	v_addc_co_u32_e32 v1, vcc, v17, v1, vcc
	global_store_dwordx2 v[0:1], v[24:25], off
	buffer_wbl2
	s_waitcnt vmcnt(0)
	global_atomic_cmpswap_x2 v[18:19], v3, v[22:25], s[2:3] offset:32 glc
	s_waitcnt vmcnt(0)
	v_cmp_ne_u64_e32 vcc, v[18:19], v[24:25]
	s_and_saveexec_b64 s[16:17], vcc
	s_cbranch_execz .LBB1_470
; %bb.468:                              ;   in Loop: Header=BB1_261 Depth=1
	s_mov_b64 s[18:19], 0
.LBB1_469:                              ;   Parent Loop BB1_261 Depth=1
                                        ; =>  This Inner Loop Header: Depth=2
	s_sleep 1
	global_store_dwordx2 v[0:1], v[18:19], off
	v_mov_b32_e32 v16, s12
	v_mov_b32_e32 v17, s13
	buffer_wbl2
	s_waitcnt vmcnt(0)
	global_atomic_cmpswap_x2 v[16:17], v3, v[16:19], s[2:3] offset:32 glc
	s_waitcnt vmcnt(0)
	v_cmp_eq_u64_e32 vcc, v[16:17], v[18:19]
	s_or_b64 s[18:19], vcc, s[18:19]
	v_pk_mov_b32 v[18:19], v[16:17], v[16:17] op_sel:[0,1]
	s_andn2_b64 exec, exec, s[18:19]
	s_cbranch_execnz .LBB1_469
.LBB1_470:                              ;   in Loop: Header=BB1_261 Depth=1
	s_or_b64 exec, exec, s[16:17]
	global_load_dwordx2 v[0:1], v3, s[2:3] offset:16
	s_mov_b64 s[18:19], exec
	v_mbcnt_lo_u32_b32 v2, s18, 0
	v_mbcnt_hi_u32_b32 v2, s19, v2
	v_cmp_eq_u32_e32 vcc, 0, v2
	s_and_saveexec_b64 s[16:17], vcc
	s_cbranch_execz .LBB1_472
; %bb.471:                              ;   in Loop: Header=BB1_261 Depth=1
	s_bcnt1_i32_b64 s18, s[18:19]
	v_mov_b32_e32 v2, s18
	buffer_wbl2
	s_waitcnt vmcnt(0)
	global_atomic_add_x2 v[0:1], v[2:3], off offset:8
.LBB1_472:                              ;   in Loop: Header=BB1_261 Depth=1
	s_or_b64 exec, exec, s[16:17]
	s_waitcnt vmcnt(0)
	global_load_dwordx2 v[16:17], v[0:1], off offset:16
	s_waitcnt vmcnt(0)
	v_cmp_eq_u64_e32 vcc, 0, v[16:17]
	s_cbranch_vccnz .LBB1_474
; %bb.473:                              ;   in Loop: Header=BB1_261 Depth=1
	global_load_dword v2, v[0:1], off offset:24
	s_waitcnt vmcnt(0)
	v_and_b32_e32 v0, 0xffffff, v2
	v_readfirstlane_b32 m0, v0
	buffer_wbl2
	global_store_dwordx2 v[16:17], v[2:3], off
	s_sendmsg sendmsg(MSG_INTERRUPT)
.LBB1_474:                              ;   in Loop: Header=BB1_261 Depth=1
	s_or_b64 exec, exec, s[14:15]
	v_add_co_u32_e32 v0, vcc, v4, v39
	v_addc_co_u32_e32 v1, vcc, 0, v5, vcc
	s_branch .LBB1_478
.LBB1_475:                              ;   in Loop: Header=BB1_478 Depth=2
	s_or_b64 exec, exec, s[14:15]
	v_readfirstlane_b32 s14, v2
	s_cmp_eq_u32 s14, 0
	s_cbranch_scc1 .LBB1_477
; %bb.476:                              ;   in Loop: Header=BB1_478 Depth=2
	s_sleep 1
	s_cbranch_execnz .LBB1_478
	s_branch .LBB1_480
.LBB1_477:                              ;   in Loop: Header=BB1_261 Depth=1
	s_branch .LBB1_480
.LBB1_478:                              ;   Parent Loop BB1_261 Depth=1
                                        ; =>  This Inner Loop Header: Depth=2
	v_mov_b32_e32 v2, 1
	s_and_saveexec_b64 s[14:15], s[0:1]
	s_cbranch_execz .LBB1_475
; %bb.479:                              ;   in Loop: Header=BB1_478 Depth=2
	global_load_dword v2, v[20:21], off offset:20 glc
	s_waitcnt vmcnt(0)
	buffer_invl2
	buffer_wbinvl1_vol
	v_and_b32_e32 v2, 1, v2
	s_branch .LBB1_475
.LBB1_480:                              ;   in Loop: Header=BB1_261 Depth=1
	global_load_dwordx2 v[16:17], v[0:1], off
	s_and_saveexec_b64 s[14:15], s[0:1]
	s_cbranch_execz .LBB1_484
; %bb.481:                              ;   in Loop: Header=BB1_261 Depth=1
	global_load_dwordx2 v[0:1], v3, s[2:3] offset:40
	global_load_dwordx2 v[4:5], v3, s[2:3] offset:24 glc
	global_load_dwordx2 v[22:23], v3, s[2:3]
	v_mov_b32_e32 v2, s13
	s_waitcnt vmcnt(2)
	v_add_co_u32_e32 v21, vcc, 1, v0
	v_addc_co_u32_e32 v24, vcc, 0, v1, vcc
	v_add_co_u32_e32 v18, vcc, s12, v21
	v_addc_co_u32_e32 v19, vcc, v24, v2, vcc
	v_cmp_eq_u64_e32 vcc, 0, v[18:19]
	v_cndmask_b32_e32 v19, v19, v24, vcc
	v_cndmask_b32_e32 v18, v18, v21, vcc
	v_and_b32_e32 v1, v19, v1
	v_and_b32_e32 v0, v18, v0
	v_mul_lo_u32 v1, v1, 24
	v_mul_hi_u32 v2, v0, 24
	v_mul_lo_u32 v0, v0, 24
	v_add_u32_e32 v1, v2, v1
	s_waitcnt vmcnt(0)
	v_add_co_u32_e32 v0, vcc, v22, v0
	v_addc_co_u32_e32 v1, vcc, v23, v1, vcc
	v_mov_b32_e32 v20, v4
	global_store_dwordx2 v[0:1], v[4:5], off
	v_mov_b32_e32 v21, v5
	buffer_wbl2
	s_waitcnt vmcnt(0)
	global_atomic_cmpswap_x2 v[20:21], v3, v[18:21], s[2:3] offset:24 glc
	s_waitcnt vmcnt(0)
	v_cmp_ne_u64_e32 vcc, v[20:21], v[4:5]
	s_and_b64 exec, exec, vcc
	s_cbranch_execz .LBB1_484
; %bb.482:                              ;   in Loop: Header=BB1_261 Depth=1
	s_mov_b64 s[0:1], 0
.LBB1_483:                              ;   Parent Loop BB1_261 Depth=1
                                        ; =>  This Inner Loop Header: Depth=2
	s_sleep 1
	global_store_dwordx2 v[0:1], v[20:21], off
	buffer_wbl2
	s_waitcnt vmcnt(0)
	global_atomic_cmpswap_x2 v[4:5], v3, v[18:21], s[2:3] offset:24 glc
	s_waitcnt vmcnt(0)
	v_cmp_eq_u64_e32 vcc, v[4:5], v[20:21]
	s_or_b64 s[0:1], vcc, s[0:1]
	v_pk_mov_b32 v[20:21], v[4:5], v[4:5] op_sel:[0,1]
	s_andn2_b64 exec, exec, s[0:1]
	s_cbranch_execnz .LBB1_483
.LBB1_484:                              ;   in Loop: Header=BB1_261 Depth=1
	s_or_b64 exec, exec, s[14:15]
	s_and_b64 vcc, exec, s[10:11]
	s_cbranch_vccnz .LBB1_373
.LBB1_485:                              ;   in Loop: Header=BB1_261 Depth=1
	s_cbranch_execz .LBB1_260
; %bb.486:                              ;   in Loop: Header=BB1_261 Depth=1
	v_readfirstlane_b32 s0, v38
	v_cmp_eq_u32_e64 s[0:1], s0, v38
	s_waitcnt vmcnt(0)
	v_pk_mov_b32 v[0:1], 0, 0
	s_and_saveexec_b64 s[12:13], s[0:1]
	s_cbranch_execz .LBB1_492
; %bb.487:                              ;   in Loop: Header=BB1_261 Depth=1
	global_load_dwordx2 v[20:21], v3, s[2:3] offset:24 glc
	s_waitcnt vmcnt(0)
	buffer_invl2
	buffer_wbinvl1_vol
	global_load_dwordx2 v[0:1], v3, s[2:3] offset:40
	global_load_dwordx2 v[4:5], v3, s[2:3]
	s_waitcnt vmcnt(1)
	v_and_b32_e32 v0, v0, v20
	v_and_b32_e32 v1, v1, v21
	v_mul_lo_u32 v1, v1, 24
	v_mul_hi_u32 v2, v0, 24
	v_mul_lo_u32 v0, v0, 24
	v_add_u32_e32 v1, v2, v1
	s_waitcnt vmcnt(0)
	v_add_co_u32_e32 v0, vcc, v4, v0
	v_addc_co_u32_e32 v1, vcc, v5, v1, vcc
	global_load_dwordx2 v[18:19], v[0:1], off glc
	s_waitcnt vmcnt(0)
	global_atomic_cmpswap_x2 v[0:1], v3, v[18:21], s[2:3] offset:24 glc
	s_waitcnt vmcnt(0)
	buffer_invl2
	buffer_wbinvl1_vol
	v_cmp_ne_u64_e32 vcc, v[0:1], v[20:21]
	s_and_saveexec_b64 s[14:15], vcc
	s_cbranch_execz .LBB1_491
; %bb.488:                              ;   in Loop: Header=BB1_261 Depth=1
	s_mov_b64 s[16:17], 0
.LBB1_489:                              ;   Parent Loop BB1_261 Depth=1
                                        ; =>  This Inner Loop Header: Depth=2
	s_sleep 1
	global_load_dwordx2 v[4:5], v3, s[2:3] offset:40
	global_load_dwordx2 v[18:19], v3, s[2:3]
	v_pk_mov_b32 v[20:21], v[0:1], v[0:1] op_sel:[0,1]
	s_waitcnt vmcnt(1)
	v_and_b32_e32 v0, v4, v20
	s_waitcnt vmcnt(0)
	v_mad_u64_u32 v[0:1], s[18:19], v0, 24, v[18:19]
	v_and_b32_e32 v5, v5, v21
	v_mov_b32_e32 v2, v1
	v_mad_u64_u32 v[4:5], s[18:19], v5, 24, v[2:3]
	v_mov_b32_e32 v1, v4
	global_load_dwordx2 v[18:19], v[0:1], off glc
	s_waitcnt vmcnt(0)
	global_atomic_cmpswap_x2 v[0:1], v3, v[18:21], s[2:3] offset:24 glc
	s_waitcnt vmcnt(0)
	buffer_invl2
	buffer_wbinvl1_vol
	v_cmp_eq_u64_e32 vcc, v[0:1], v[20:21]
	s_or_b64 s[16:17], vcc, s[16:17]
	s_andn2_b64 exec, exec, s[16:17]
	s_cbranch_execnz .LBB1_489
; %bb.490:                              ;   in Loop: Header=BB1_261 Depth=1
	s_or_b64 exec, exec, s[16:17]
.LBB1_491:                              ;   in Loop: Header=BB1_261 Depth=1
	s_or_b64 exec, exec, s[14:15]
.LBB1_492:                              ;   in Loop: Header=BB1_261 Depth=1
	s_or_b64 exec, exec, s[12:13]
	global_load_dwordx2 v[4:5], v3, s[2:3] offset:40
	global_load_dwordx4 v[20:23], v3, s[2:3]
	v_readfirstlane_b32 s12, v0
	v_readfirstlane_b32 s13, v1
	s_mov_b64 s[14:15], exec
	s_waitcnt vmcnt(1)
	v_readfirstlane_b32 s16, v4
	v_readfirstlane_b32 s17, v5
	s_and_b64 s[16:17], s[12:13], s[16:17]
	s_mul_i32 s18, s17, 24
	s_mul_hi_u32 s19, s16, 24
	s_mul_i32 s20, s16, 24
	s_add_i32 s18, s19, s18
	v_mov_b32_e32 v1, s18
	s_waitcnt vmcnt(0)
	v_add_co_u32_e32 v0, vcc, s20, v20
	v_addc_co_u32_e32 v1, vcc, v21, v1, vcc
	s_and_saveexec_b64 s[18:19], s[0:1]
	s_cbranch_execz .LBB1_494
; %bb.493:                              ;   in Loop: Header=BB1_261 Depth=1
	v_pk_mov_b32 v[4:5], s[14:15], s[14:15] op_sel:[0,1]
	global_store_dwordx4 v[0:1], v[4:7], off offset:8
.LBB1_494:                              ;   in Loop: Header=BB1_261 Depth=1
	s_or_b64 exec, exec, s[18:19]
	s_lshl_b64 s[14:15], s[16:17], 12
	v_mov_b32_e32 v4, s15
	v_add_co_u32_e32 v2, vcc, s14, v22
	v_addc_co_u32_e32 v5, vcc, v23, v4, vcc
	v_and_or_b32 v16, v16, s27, 34
	v_mov_b32_e32 v18, v3
	v_mov_b32_e32 v19, v3
	v_readfirstlane_b32 s14, v2
	v_readfirstlane_b32 s15, v5
	s_nop 4
	global_store_dwordx4 v39, v[16:19], s[14:15]
	s_nop 0
	v_pk_mov_b32 v[18:19], s[6:7], s[6:7] op_sel:[0,1]
	v_pk_mov_b32 v[16:17], s[4:5], s[4:5] op_sel:[0,1]
	global_store_dwordx4 v39, v[16:19], s[14:15] offset:16
	global_store_dwordx4 v39, v[16:19], s[14:15] offset:32
	;; [unrolled: 1-line block ×3, first 2 shown]
	s_and_saveexec_b64 s[14:15], s[0:1]
	s_cbranch_execz .LBB1_502
; %bb.495:                              ;   in Loop: Header=BB1_261 Depth=1
	global_load_dwordx2 v[24:25], v3, s[2:3] offset:32 glc
	global_load_dwordx2 v[4:5], v3, s[2:3] offset:40
	v_mov_b32_e32 v22, s12
	v_mov_b32_e32 v23, s13
	s_waitcnt vmcnt(0)
	v_readfirstlane_b32 s16, v4
	v_readfirstlane_b32 s17, v5
	s_and_b64 s[16:17], s[16:17], s[12:13]
	s_mul_i32 s17, s17, 24
	s_mul_hi_u32 s18, s16, 24
	s_mul_i32 s16, s16, 24
	s_add_i32 s17, s18, s17
	v_mov_b32_e32 v2, s17
	v_add_co_u32_e32 v4, vcc, s16, v20
	v_addc_co_u32_e32 v5, vcc, v21, v2, vcc
	global_store_dwordx2 v[4:5], v[24:25], off
	buffer_wbl2
	s_waitcnt vmcnt(0)
	global_atomic_cmpswap_x2 v[18:19], v3, v[22:25], s[2:3] offset:32 glc
	s_waitcnt vmcnt(0)
	v_cmp_ne_u64_e32 vcc, v[18:19], v[24:25]
	s_and_saveexec_b64 s[16:17], vcc
	s_cbranch_execz .LBB1_498
; %bb.496:                              ;   in Loop: Header=BB1_261 Depth=1
	s_mov_b64 s[18:19], 0
.LBB1_497:                              ;   Parent Loop BB1_261 Depth=1
                                        ; =>  This Inner Loop Header: Depth=2
	s_sleep 1
	global_store_dwordx2 v[4:5], v[18:19], off
	v_mov_b32_e32 v16, s12
	v_mov_b32_e32 v17, s13
	buffer_wbl2
	s_waitcnt vmcnt(0)
	global_atomic_cmpswap_x2 v[16:17], v3, v[16:19], s[2:3] offset:32 glc
	s_waitcnt vmcnt(0)
	v_cmp_eq_u64_e32 vcc, v[16:17], v[18:19]
	s_or_b64 s[18:19], vcc, s[18:19]
	v_pk_mov_b32 v[18:19], v[16:17], v[16:17] op_sel:[0,1]
	s_andn2_b64 exec, exec, s[18:19]
	s_cbranch_execnz .LBB1_497
.LBB1_498:                              ;   in Loop: Header=BB1_261 Depth=1
	s_or_b64 exec, exec, s[16:17]
	global_load_dwordx2 v[4:5], v3, s[2:3] offset:16
	s_mov_b64 s[18:19], exec
	v_mbcnt_lo_u32_b32 v2, s18, 0
	v_mbcnt_hi_u32_b32 v2, s19, v2
	v_cmp_eq_u32_e32 vcc, 0, v2
	s_and_saveexec_b64 s[16:17], vcc
	s_cbranch_execz .LBB1_500
; %bb.499:                              ;   in Loop: Header=BB1_261 Depth=1
	s_bcnt1_i32_b64 s18, s[18:19]
	v_mov_b32_e32 v2, s18
	buffer_wbl2
	s_waitcnt vmcnt(0)
	global_atomic_add_x2 v[4:5], v[2:3], off offset:8
.LBB1_500:                              ;   in Loop: Header=BB1_261 Depth=1
	s_or_b64 exec, exec, s[16:17]
	s_waitcnt vmcnt(0)
	global_load_dwordx2 v[16:17], v[4:5], off offset:16
	s_waitcnt vmcnt(0)
	v_cmp_eq_u64_e32 vcc, 0, v[16:17]
	s_cbranch_vccnz .LBB1_502
; %bb.501:                              ;   in Loop: Header=BB1_261 Depth=1
	global_load_dword v2, v[4:5], off offset:24
	buffer_wbl2
	s_waitcnt vmcnt(0)
	global_store_dwordx2 v[16:17], v[2:3], off
	v_and_b32_e32 v2, 0xffffff, v2
	v_readfirstlane_b32 m0, v2
	s_sendmsg sendmsg(MSG_INTERRUPT)
.LBB1_502:                              ;   in Loop: Header=BB1_261 Depth=1
	s_or_b64 exec, exec, s[14:15]
	s_branch .LBB1_506
.LBB1_503:                              ;   in Loop: Header=BB1_506 Depth=2
	s_or_b64 exec, exec, s[14:15]
	v_readfirstlane_b32 s14, v2
	s_cmp_eq_u32 s14, 0
	s_cbranch_scc1 .LBB1_505
; %bb.504:                              ;   in Loop: Header=BB1_506 Depth=2
	s_sleep 1
	s_cbranch_execnz .LBB1_506
	s_branch .LBB1_508
.LBB1_505:                              ;   in Loop: Header=BB1_261 Depth=1
	s_branch .LBB1_508
.LBB1_506:                              ;   Parent Loop BB1_261 Depth=1
                                        ; =>  This Inner Loop Header: Depth=2
	v_mov_b32_e32 v2, 1
	s_and_saveexec_b64 s[14:15], s[0:1]
	s_cbranch_execz .LBB1_503
; %bb.507:                              ;   in Loop: Header=BB1_506 Depth=2
	global_load_dword v2, v[0:1], off offset:20 glc
	s_waitcnt vmcnt(0)
	buffer_invl2
	buffer_wbinvl1_vol
	v_and_b32_e32 v2, 1, v2
	s_branch .LBB1_503
.LBB1_508:                              ;   in Loop: Header=BB1_261 Depth=1
	s_and_saveexec_b64 s[14:15], s[0:1]
	s_cbranch_execz .LBB1_259
; %bb.509:                              ;   in Loop: Header=BB1_261 Depth=1
	global_load_dwordx2 v[0:1], v3, s[2:3] offset:40
	global_load_dwordx2 v[4:5], v3, s[2:3] offset:24 glc
	global_load_dwordx2 v[20:21], v3, s[2:3]
	v_mov_b32_e32 v2, s13
	s_waitcnt vmcnt(2)
	v_add_co_u32_e32 v19, vcc, 1, v0
	v_addc_co_u32_e32 v22, vcc, 0, v1, vcc
	v_add_co_u32_e32 v16, vcc, s12, v19
	v_addc_co_u32_e32 v17, vcc, v22, v2, vcc
	v_cmp_eq_u64_e32 vcc, 0, v[16:17]
	v_cndmask_b32_e32 v17, v17, v22, vcc
	v_cndmask_b32_e32 v16, v16, v19, vcc
	v_and_b32_e32 v1, v17, v1
	v_and_b32_e32 v0, v16, v0
	v_mul_lo_u32 v1, v1, 24
	v_mul_hi_u32 v2, v0, 24
	v_mul_lo_u32 v0, v0, 24
	v_add_u32_e32 v1, v2, v1
	s_waitcnt vmcnt(0)
	v_add_co_u32_e32 v0, vcc, v20, v0
	v_addc_co_u32_e32 v1, vcc, v21, v1, vcc
	v_mov_b32_e32 v18, v4
	global_store_dwordx2 v[0:1], v[4:5], off
	v_mov_b32_e32 v19, v5
	buffer_wbl2
	s_waitcnt vmcnt(0)
	global_atomic_cmpswap_x2 v[18:19], v3, v[16:19], s[2:3] offset:24 glc
	s_waitcnt vmcnt(0)
	v_cmp_ne_u64_e32 vcc, v[18:19], v[4:5]
	s_and_b64 exec, exec, vcc
	s_cbranch_execz .LBB1_259
; %bb.510:                              ;   in Loop: Header=BB1_261 Depth=1
	s_mov_b64 s[0:1], 0
.LBB1_511:                              ;   Parent Loop BB1_261 Depth=1
                                        ; =>  This Inner Loop Header: Depth=2
	s_sleep 1
	global_store_dwordx2 v[0:1], v[18:19], off
	buffer_wbl2
	s_waitcnt vmcnt(0)
	global_atomic_cmpswap_x2 v[4:5], v3, v[16:19], s[2:3] offset:24 glc
	s_waitcnt vmcnt(0)
	v_cmp_eq_u64_e32 vcc, v[4:5], v[18:19]
	s_or_b64 s[0:1], vcc, s[0:1]
	v_pk_mov_b32 v[18:19], v[4:5], v[4:5] op_sel:[0,1]
	s_andn2_b64 exec, exec, s[0:1]
	s_cbranch_execnz .LBB1_511
	s_branch .LBB1_259
.LBB1_512:
	s_endpgm
	.section	.rodata,"a",@progbits
	.p2align	6, 0x0
	.amdhsa_kernel _ZN19hipPrintfStressTest32kernel_printf_two_conditionalstrEj
		.amdhsa_group_segment_fixed_size 0
		.amdhsa_private_segment_fixed_size 0
		.amdhsa_kernarg_size 264
		.amdhsa_user_sgpr_count 6
		.amdhsa_user_sgpr_private_segment_buffer 1
		.amdhsa_user_sgpr_dispatch_ptr 0
		.amdhsa_user_sgpr_queue_ptr 0
		.amdhsa_user_sgpr_kernarg_segment_ptr 1
		.amdhsa_user_sgpr_dispatch_id 0
		.amdhsa_user_sgpr_flat_scratch_init 0
		.amdhsa_user_sgpr_kernarg_preload_length 0
		.amdhsa_user_sgpr_kernarg_preload_offset 0
		.amdhsa_user_sgpr_private_segment_size 0
		.amdhsa_uses_dynamic_stack 0
		.amdhsa_system_sgpr_private_segment_wavefront_offset 0
		.amdhsa_system_sgpr_workgroup_id_x 1
		.amdhsa_system_sgpr_workgroup_id_y 0
		.amdhsa_system_sgpr_workgroup_id_z 0
		.amdhsa_system_sgpr_workgroup_info 0
		.amdhsa_system_vgpr_workitem_id 0
		.amdhsa_next_free_vgpr 42
		.amdhsa_next_free_sgpr 38
		.amdhsa_accum_offset 44
		.amdhsa_reserve_vcc 1
		.amdhsa_reserve_flat_scratch 0
		.amdhsa_float_round_mode_32 0
		.amdhsa_float_round_mode_16_64 0
		.amdhsa_float_denorm_mode_32 3
		.amdhsa_float_denorm_mode_16_64 3
		.amdhsa_dx10_clamp 1
		.amdhsa_ieee_mode 1
		.amdhsa_fp16_overflow 0
		.amdhsa_tg_split 0
		.amdhsa_exception_fp_ieee_invalid_op 0
		.amdhsa_exception_fp_denorm_src 0
		.amdhsa_exception_fp_ieee_div_zero 0
		.amdhsa_exception_fp_ieee_overflow 0
		.amdhsa_exception_fp_ieee_underflow 0
		.amdhsa_exception_fp_ieee_inexact 0
		.amdhsa_exception_int_div_zero 0
	.end_amdhsa_kernel
	.text
.Lfunc_end1:
	.size	_ZN19hipPrintfStressTest32kernel_printf_two_conditionalstrEj, .Lfunc_end1-_ZN19hipPrintfStressTest32kernel_printf_two_conditionalstrEj
                                        ; -- End function
	.section	.AMDGPU.csdata,"",@progbits
; Kernel info:
; codeLenInByte = 16808
; NumSgprs: 42
; NumVgprs: 42
; NumAgprs: 0
; TotalNumVgprs: 42
; ScratchSize: 0
; MemoryBound: 0
; FloatMode: 240
; IeeeMode: 1
; LDSByteSize: 0 bytes/workgroup (compile time only)
; SGPRBlocks: 5
; VGPRBlocks: 5
; NumSGPRsForWavesPerEU: 42
; NumVGPRsForWavesPerEU: 42
; AccumOffset: 44
; Occupancy: 8
; WaveLimiterHint : 1
; COMPUTE_PGM_RSRC2:SCRATCH_EN: 0
; COMPUTE_PGM_RSRC2:USER_SGPR: 6
; COMPUTE_PGM_RSRC2:TRAP_HANDLER: 0
; COMPUTE_PGM_RSRC2:TGID_X_EN: 1
; COMPUTE_PGM_RSRC2:TGID_Y_EN: 0
; COMPUTE_PGM_RSRC2:TGID_Z_EN: 0
; COMPUTE_PGM_RSRC2:TIDIG_COMP_CNT: 0
; COMPUTE_PGM_RSRC3_GFX90A:ACCUM_OFFSET: 10
; COMPUTE_PGM_RSRC3_GFX90A:TG_SPLIT: 0
	.text
	.protected	_ZN19hipPrintfStressTest35kernel_printf_single_conditionalstrEj ; -- Begin function _ZN19hipPrintfStressTest35kernel_printf_single_conditionalstrEj
	.globl	_ZN19hipPrintfStressTest35kernel_printf_single_conditionalstrEj
	.p2align	8
	.type	_ZN19hipPrintfStressTest35kernel_printf_single_conditionalstrEj,@function
_ZN19hipPrintfStressTest35kernel_printf_single_conditionalstrEj: ; @_ZN19hipPrintfStressTest35kernel_printf_single_conditionalstrEj
; %bb.0:
	s_load_dword s2, s[4:5], 0x14
	s_load_dword s26, s[4:5], 0x0
	s_add_u32 s0, s4, 8
	s_addc_u32 s1, s5, 0
	s_mov_b32 s4, 0
	s_waitcnt lgkmcnt(0)
	s_mul_i32 s6, s6, s2
	v_add_u32_e32 v0, s6, v0
	v_and_b32_e32 v0, 1, v0
	s_cmp_lg_u32 s26, 0
	v_cmp_eq_u32_e32 vcc, 0, v0
	s_cselect_b64 s[2:3], -1, 0
	s_and_b64 s[2:3], vcc, s[2:3]
	s_and_saveexec_b64 s[6:7], s[2:3]
	s_cbranch_execz .LBB2_255
; %bb.1:
	s_load_dwordx2 s[2:3], s[0:1], 0x50
	s_getpc_b64 s[0:1]
	s_add_u32 s0, s0, .str@rel32@lo+4
	s_addc_u32 s1, s1, .str@rel32@hi+12
	s_cmp_lg_u64 s[0:1], 0
	v_mbcnt_lo_u32_b32 v0, -1, 0
	s_cselect_b64 s[8:9], -1, 0
	s_getpc_b64 s[0:1]
	s_add_u32 s0, s0, .str.2@rel32@lo+4
	s_addc_u32 s1, s1, .str.2@rel32@hi+12
	s_mov_b32 s6, s4
	s_mov_b32 s7, s4
	v_mbcnt_hi_u32_b32 v38, -1, v0
	v_mov_b32_e32 v3, 0
	s_cmp_lg_u64 s[0:1], 0
	s_mov_b32 s5, s4
	v_pk_mov_b32 v[14:15], s[6:7], s[6:7] op_sel:[0,1]
	s_cselect_b64 s[10:11], -1, 0
	v_lshlrev_b32_e32 v39, 6, v38
	s_movk_i32 s27, 0xff1f
	s_movk_i32 s28, 0xff1d
	v_mov_b32_e32 v6, 2
	v_mov_b32_e32 v7, 1
	;; [unrolled: 1-line block ×6, first 2 shown]
	v_pk_mov_b32 v[12:13], s[4:5], s[4:5] op_sel:[0,1]
	s_mov_b32 s29, s4
	s_branch .LBB2_4
.LBB2_2:                                ;   in Loop: Header=BB2_4 Depth=1
	s_or_b64 exec, exec, s[14:15]
.LBB2_3:                                ;   in Loop: Header=BB2_4 Depth=1
	s_add_i32 s29, s29, 1
	s_cmp_lg_u32 s29, s26
	s_cbranch_scc0 .LBB2_255
.LBB2_4:                                ; =>This Loop Header: Depth=1
                                        ;     Child Loop BB2_7 Depth 2
                                        ;     Child Loop BB2_15 Depth 2
	;; [unrolled: 1-line block ×9, first 2 shown]
                                        ;       Child Loop BB2_36 Depth 3
                                        ;       Child Loop BB2_43 Depth 3
	;; [unrolled: 1-line block ×11, first 2 shown]
                                        ;     Child Loop BB2_232 Depth 2
                                        ;     Child Loop BB2_240 Depth 2
	;; [unrolled: 1-line block ×5, first 2 shown]
                                        ;       Child Loop BB2_121 Depth 3
                                        ;       Child Loop BB2_128 Depth 3
	;; [unrolled: 1-line block ×11, first 2 shown]
	v_readfirstlane_b32 s0, v38
	v_cmp_eq_u32_e64 s[0:1], s0, v38
	s_waitcnt vmcnt(0)
	v_pk_mov_b32 v[0:1], 0, 0
	s_and_saveexec_b64 s[12:13], s[0:1]
	s_cbranch_execz .LBB2_10
; %bb.5:                                ;   in Loop: Header=BB2_4 Depth=1
	s_waitcnt lgkmcnt(0)
	global_load_dwordx2 v[18:19], v3, s[2:3] offset:24 glc
	s_waitcnt vmcnt(0)
	buffer_invl2
	buffer_wbinvl1_vol
	global_load_dwordx2 v[0:1], v3, s[2:3] offset:40
	global_load_dwordx2 v[4:5], v3, s[2:3]
	s_waitcnt vmcnt(1)
	v_and_b32_e32 v0, v0, v18
	v_and_b32_e32 v1, v1, v19
	v_mul_lo_u32 v1, v1, 24
	v_mul_hi_u32 v2, v0, 24
	v_mul_lo_u32 v0, v0, 24
	v_add_u32_e32 v1, v2, v1
	s_waitcnt vmcnt(0)
	v_add_co_u32_e32 v0, vcc, v4, v0
	v_addc_co_u32_e32 v1, vcc, v5, v1, vcc
	global_load_dwordx2 v[16:17], v[0:1], off glc
	s_waitcnt vmcnt(0)
	global_atomic_cmpswap_x2 v[0:1], v3, v[16:19], s[2:3] offset:24 glc
	s_waitcnt vmcnt(0)
	buffer_invl2
	buffer_wbinvl1_vol
	v_cmp_ne_u64_e32 vcc, v[0:1], v[18:19]
	s_and_saveexec_b64 s[14:15], vcc
	s_cbranch_execz .LBB2_9
; %bb.6:                                ;   in Loop: Header=BB2_4 Depth=1
	s_mov_b64 s[16:17], 0
.LBB2_7:                                ;   Parent Loop BB2_4 Depth=1
                                        ; =>  This Inner Loop Header: Depth=2
	s_sleep 1
	global_load_dwordx2 v[4:5], v3, s[2:3] offset:40
	global_load_dwordx2 v[16:17], v3, s[2:3]
	v_pk_mov_b32 v[18:19], v[0:1], v[0:1] op_sel:[0,1]
	s_waitcnt vmcnt(1)
	v_and_b32_e32 v0, v4, v18
	s_waitcnt vmcnt(0)
	v_mad_u64_u32 v[0:1], s[18:19], v0, 24, v[16:17]
	v_and_b32_e32 v5, v5, v19
	v_mov_b32_e32 v2, v1
	v_mad_u64_u32 v[4:5], s[18:19], v5, 24, v[2:3]
	v_mov_b32_e32 v1, v4
	global_load_dwordx2 v[16:17], v[0:1], off glc
	s_waitcnt vmcnt(0)
	global_atomic_cmpswap_x2 v[0:1], v3, v[16:19], s[2:3] offset:24 glc
	s_waitcnt vmcnt(0)
	buffer_invl2
	buffer_wbinvl1_vol
	v_cmp_eq_u64_e32 vcc, v[0:1], v[18:19]
	s_or_b64 s[16:17], vcc, s[16:17]
	s_andn2_b64 exec, exec, s[16:17]
	s_cbranch_execnz .LBB2_7
; %bb.8:                                ;   in Loop: Header=BB2_4 Depth=1
	s_or_b64 exec, exec, s[16:17]
.LBB2_9:                                ;   in Loop: Header=BB2_4 Depth=1
	s_or_b64 exec, exec, s[14:15]
.LBB2_10:                               ;   in Loop: Header=BB2_4 Depth=1
	s_or_b64 exec, exec, s[12:13]
	s_waitcnt lgkmcnt(0)
	global_load_dwordx2 v[4:5], v3, s[2:3] offset:40
	global_load_dwordx4 v[16:19], v3, s[2:3]
	v_readfirstlane_b32 s12, v0
	v_readfirstlane_b32 s13, v1
	s_mov_b64 s[14:15], exec
	s_waitcnt vmcnt(1)
	v_readfirstlane_b32 s16, v4
	v_readfirstlane_b32 s17, v5
	s_and_b64 s[16:17], s[12:13], s[16:17]
	s_mul_i32 s18, s17, 24
	s_mul_hi_u32 s19, s16, 24
	s_mul_i32 s20, s16, 24
	s_add_i32 s18, s19, s18
	v_mov_b32_e32 v1, s18
	s_waitcnt vmcnt(0)
	v_add_co_u32_e32 v0, vcc, s20, v16
	v_addc_co_u32_e32 v1, vcc, v17, v1, vcc
	s_and_saveexec_b64 s[18:19], s[0:1]
	s_cbranch_execz .LBB2_12
; %bb.11:                               ;   in Loop: Header=BB2_4 Depth=1
	v_pk_mov_b32 v[4:5], s[14:15], s[14:15] op_sel:[0,1]
	global_store_dwordx4 v[0:1], v[4:7], off offset:8
.LBB2_12:                               ;   in Loop: Header=BB2_4 Depth=1
	s_or_b64 exec, exec, s[18:19]
	s_lshl_b64 s[14:15], s[16:17], 12
	v_mov_b32_e32 v2, s15
	v_add_co_u32_e32 v4, vcc, s14, v18
	v_addc_co_u32_e32 v5, vcc, v19, v2, vcc
	v_readfirstlane_b32 s14, v4
	v_readfirstlane_b32 s15, v5
	s_nop 4
	global_store_dwordx4 v39, v[8:11], s[14:15]
	global_store_dwordx4 v39, v[12:15], s[14:15] offset:16
	global_store_dwordx4 v39, v[12:15], s[14:15] offset:32
	;; [unrolled: 1-line block ×3, first 2 shown]
	s_and_saveexec_b64 s[14:15], s[0:1]
	s_cbranch_execz .LBB2_20
; %bb.13:                               ;   in Loop: Header=BB2_4 Depth=1
	global_load_dwordx2 v[24:25], v3, s[2:3] offset:32 glc
	global_load_dwordx2 v[18:19], v3, s[2:3] offset:40
	v_mov_b32_e32 v22, s12
	v_mov_b32_e32 v23, s13
	s_waitcnt vmcnt(0)
	v_readfirstlane_b32 s16, v18
	v_readfirstlane_b32 s17, v19
	s_and_b64 s[16:17], s[16:17], s[12:13]
	s_mul_i32 s17, s17, 24
	s_mul_hi_u32 s18, s16, 24
	s_mul_i32 s16, s16, 24
	s_add_i32 s17, s18, s17
	v_mov_b32_e32 v2, s17
	v_add_co_u32_e32 v20, vcc, s16, v16
	v_addc_co_u32_e32 v21, vcc, v17, v2, vcc
	global_store_dwordx2 v[20:21], v[24:25], off
	buffer_wbl2
	s_waitcnt vmcnt(0)
	global_atomic_cmpswap_x2 v[18:19], v3, v[22:25], s[2:3] offset:32 glc
	s_waitcnt vmcnt(0)
	v_cmp_ne_u64_e32 vcc, v[18:19], v[24:25]
	s_and_saveexec_b64 s[16:17], vcc
	s_cbranch_execz .LBB2_16
; %bb.14:                               ;   in Loop: Header=BB2_4 Depth=1
	s_mov_b64 s[18:19], 0
.LBB2_15:                               ;   Parent Loop BB2_4 Depth=1
                                        ; =>  This Inner Loop Header: Depth=2
	s_sleep 1
	global_store_dwordx2 v[20:21], v[18:19], off
	v_mov_b32_e32 v16, s12
	v_mov_b32_e32 v17, s13
	buffer_wbl2
	s_waitcnt vmcnt(0)
	global_atomic_cmpswap_x2 v[16:17], v3, v[16:19], s[2:3] offset:32 glc
	s_waitcnt vmcnt(0)
	v_cmp_eq_u64_e32 vcc, v[16:17], v[18:19]
	s_or_b64 s[18:19], vcc, s[18:19]
	v_pk_mov_b32 v[18:19], v[16:17], v[16:17] op_sel:[0,1]
	s_andn2_b64 exec, exec, s[18:19]
	s_cbranch_execnz .LBB2_15
.LBB2_16:                               ;   in Loop: Header=BB2_4 Depth=1
	s_or_b64 exec, exec, s[16:17]
	global_load_dwordx2 v[16:17], v3, s[2:3] offset:16
	s_mov_b64 s[18:19], exec
	v_mbcnt_lo_u32_b32 v2, s18, 0
	v_mbcnt_hi_u32_b32 v2, s19, v2
	v_cmp_eq_u32_e32 vcc, 0, v2
	s_and_saveexec_b64 s[16:17], vcc
	s_cbranch_execz .LBB2_18
; %bb.17:                               ;   in Loop: Header=BB2_4 Depth=1
	s_bcnt1_i32_b64 s18, s[18:19]
	v_mov_b32_e32 v2, s18
	buffer_wbl2
	s_waitcnt vmcnt(0)
	global_atomic_add_x2 v[16:17], v[2:3], off offset:8
.LBB2_18:                               ;   in Loop: Header=BB2_4 Depth=1
	s_or_b64 exec, exec, s[16:17]
	s_waitcnt vmcnt(0)
	global_load_dwordx2 v[18:19], v[16:17], off offset:16
	s_waitcnt vmcnt(0)
	v_cmp_eq_u64_e32 vcc, 0, v[18:19]
	s_cbranch_vccnz .LBB2_20
; %bb.19:                               ;   in Loop: Header=BB2_4 Depth=1
	global_load_dword v2, v[16:17], off offset:24
	buffer_wbl2
	s_waitcnt vmcnt(0)
	global_store_dwordx2 v[18:19], v[2:3], off
	v_and_b32_e32 v2, 0xffffff, v2
	v_readfirstlane_b32 m0, v2
	s_sendmsg sendmsg(MSG_INTERRUPT)
.LBB2_20:                               ;   in Loop: Header=BB2_4 Depth=1
	s_or_b64 exec, exec, s[14:15]
	v_add_co_u32_e32 v4, vcc, v4, v39
	v_addc_co_u32_e32 v5, vcc, 0, v5, vcc
	s_branch .LBB2_24
.LBB2_21:                               ;   in Loop: Header=BB2_24 Depth=2
	s_or_b64 exec, exec, s[14:15]
	v_readfirstlane_b32 s14, v2
	s_cmp_eq_u32 s14, 0
	s_cbranch_scc1 .LBB2_23
; %bb.22:                               ;   in Loop: Header=BB2_24 Depth=2
	s_sleep 1
	s_cbranch_execnz .LBB2_24
	s_branch .LBB2_26
.LBB2_23:                               ;   in Loop: Header=BB2_4 Depth=1
	s_branch .LBB2_26
.LBB2_24:                               ;   Parent Loop BB2_4 Depth=1
                                        ; =>  This Inner Loop Header: Depth=2
	v_mov_b32_e32 v2, 1
	s_and_saveexec_b64 s[14:15], s[0:1]
	s_cbranch_execz .LBB2_21
; %bb.25:                               ;   in Loop: Header=BB2_24 Depth=2
	global_load_dword v2, v[0:1], off offset:20 glc
	s_waitcnt vmcnt(0)
	buffer_invl2
	buffer_wbinvl1_vol
	v_and_b32_e32 v2, 1, v2
	s_branch .LBB2_21
.LBB2_26:                               ;   in Loop: Header=BB2_4 Depth=1
	global_load_dwordx2 v[0:1], v[4:5], off
	s_and_saveexec_b64 s[14:15], s[0:1]
	s_cbranch_execz .LBB2_30
; %bb.27:                               ;   in Loop: Header=BB2_4 Depth=1
	global_load_dwordx2 v[4:5], v3, s[2:3] offset:40
	global_load_dwordx2 v[20:21], v3, s[2:3] offset:24 glc
	global_load_dwordx2 v[22:23], v3, s[2:3]
	v_mov_b32_e32 v2, s13
	s_waitcnt vmcnt(2)
	v_add_co_u32_e32 v19, vcc, 1, v4
	v_addc_co_u32_e32 v24, vcc, 0, v5, vcc
	v_add_co_u32_e32 v16, vcc, s12, v19
	v_addc_co_u32_e32 v17, vcc, v24, v2, vcc
	v_cmp_eq_u64_e32 vcc, 0, v[16:17]
	v_cndmask_b32_e32 v17, v17, v24, vcc
	v_cndmask_b32_e32 v16, v16, v19, vcc
	v_and_b32_e32 v2, v17, v5
	v_and_b32_e32 v4, v16, v4
	v_mul_lo_u32 v2, v2, 24
	v_mul_hi_u32 v5, v4, 24
	v_mul_lo_u32 v4, v4, 24
	v_add_u32_e32 v2, v5, v2
	s_waitcnt vmcnt(0)
	v_add_co_u32_e32 v4, vcc, v22, v4
	v_addc_co_u32_e32 v5, vcc, v23, v2, vcc
	v_mov_b32_e32 v18, v20
	global_store_dwordx2 v[4:5], v[20:21], off
	v_mov_b32_e32 v19, v21
	buffer_wbl2
	s_waitcnt vmcnt(0)
	global_atomic_cmpswap_x2 v[18:19], v3, v[16:19], s[2:3] offset:24 glc
	s_waitcnt vmcnt(0)
	v_cmp_ne_u64_e32 vcc, v[18:19], v[20:21]
	s_and_b64 exec, exec, vcc
	s_cbranch_execz .LBB2_30
; %bb.28:                               ;   in Loop: Header=BB2_4 Depth=1
	s_mov_b64 s[0:1], 0
.LBB2_29:                               ;   Parent Loop BB2_4 Depth=1
                                        ; =>  This Inner Loop Header: Depth=2
	s_sleep 1
	global_store_dwordx2 v[4:5], v[18:19], off
	buffer_wbl2
	s_waitcnt vmcnt(0)
	global_atomic_cmpswap_x2 v[20:21], v3, v[16:19], s[2:3] offset:24 glc
	s_waitcnt vmcnt(0)
	v_cmp_eq_u64_e32 vcc, v[20:21], v[18:19]
	s_or_b64 s[0:1], vcc, s[0:1]
	v_pk_mov_b32 v[18:19], v[20:21], v[20:21] op_sel:[0,1]
	s_andn2_b64 exec, exec, s[0:1]
	s_cbranch_execnz .LBB2_29
.LBB2_30:                               ;   in Loop: Header=BB2_4 Depth=1
	s_or_b64 exec, exec, s[14:15]
	s_and_b64 vcc, exec, s[8:9]
	s_cbranch_vccz .LBB2_200
; %bb.31:                               ;   in Loop: Header=BB2_4 Depth=1
	s_waitcnt vmcnt(0)
	v_and_b32_e32 v36, 2, v0
	v_and_b32_e32 v16, -3, v0
	v_mov_b32_e32 v17, v1
	s_mov_b64 s[14:15], 3
	s_getpc_b64 s[12:13]
	s_add_u32 s12, s12, .str@rel32@lo+4
	s_addc_u32 s13, s13, .str@rel32@hi+12
	s_branch .LBB2_33
.LBB2_32:                               ;   in Loop: Header=BB2_33 Depth=2
	s_or_b64 exec, exec, s[20:21]
	s_sub_u32 s14, s14, s16
	s_subb_u32 s15, s15, s17
	s_add_u32 s12, s12, s16
	s_addc_u32 s13, s13, s17
	s_cmp_lg_u64 s[14:15], 0
	s_cbranch_scc0 .LBB2_114
.LBB2_33:                               ;   Parent Loop BB2_4 Depth=1
                                        ; =>  This Loop Header: Depth=2
                                        ;       Child Loop BB2_36 Depth 3
                                        ;       Child Loop BB2_43 Depth 3
	;; [unrolled: 1-line block ×11, first 2 shown]
	v_cmp_lt_u64_e64 s[0:1], s[14:15], 56
	s_and_b64 s[0:1], s[0:1], exec
	v_cmp_gt_u64_e64 s[0:1], s[14:15], 7
	s_cselect_b32 s17, s15, 0
	s_cselect_b32 s16, s14, 56
	s_and_b64 vcc, exec, s[0:1]
	s_cbranch_vccnz .LBB2_38
; %bb.34:                               ;   in Loop: Header=BB2_33 Depth=2
	s_mov_b64 s[0:1], 0
	s_cmp_eq_u64 s[14:15], 0
	s_waitcnt vmcnt(0)
	v_pk_mov_b32 v[18:19], 0, 0
	s_cbranch_scc1 .LBB2_37
; %bb.35:                               ;   in Loop: Header=BB2_33 Depth=2
	s_lshl_b64 s[18:19], s[16:17], 3
	s_mov_b64 s[20:21], 0
	v_pk_mov_b32 v[18:19], 0, 0
	s_mov_b64 s[22:23], s[12:13]
.LBB2_36:                               ;   Parent Loop BB2_4 Depth=1
                                        ;     Parent Loop BB2_33 Depth=2
                                        ; =>    This Inner Loop Header: Depth=3
	global_load_ubyte v2, v3, s[22:23]
	s_waitcnt vmcnt(0)
	v_and_b32_e32 v2, 0xffff, v2
	v_lshlrev_b64 v[4:5], s20, v[2:3]
	s_add_u32 s20, s20, 8
	s_addc_u32 s21, s21, 0
	s_add_u32 s22, s22, 1
	s_addc_u32 s23, s23, 0
	v_or_b32_e32 v18, v4, v18
	s_cmp_lg_u32 s18, s20
	v_or_b32_e32 v19, v5, v19
	s_cbranch_scc1 .LBB2_36
.LBB2_37:                               ;   in Loop: Header=BB2_33 Depth=2
	s_mov_b32 s22, 0
	s_andn2_b64 vcc, exec, s[0:1]
	s_mov_b64 s[0:1], s[12:13]
	s_cbranch_vccz .LBB2_39
	s_branch .LBB2_40
.LBB2_38:                               ;   in Loop: Header=BB2_33 Depth=2
                                        ; implicit-def: $vgpr18_vgpr19
                                        ; implicit-def: $sgpr22
	s_mov_b64 s[0:1], s[12:13]
.LBB2_39:                               ;   in Loop: Header=BB2_33 Depth=2
	global_load_dwordx2 v[18:19], v3, s[12:13]
	s_add_i32 s22, s16, -8
	s_add_u32 s0, s12, 8
	s_addc_u32 s1, s13, 0
.LBB2_40:                               ;   in Loop: Header=BB2_33 Depth=2
	s_cmp_gt_u32 s22, 7
	s_cbranch_scc1 .LBB2_44
; %bb.41:                               ;   in Loop: Header=BB2_33 Depth=2
	s_cmp_eq_u32 s22, 0
	s_cbranch_scc1 .LBB2_45
; %bb.42:                               ;   in Loop: Header=BB2_33 Depth=2
	s_mov_b64 s[18:19], 0
	v_pk_mov_b32 v[20:21], 0, 0
	s_mov_b64 s[20:21], 0
.LBB2_43:                               ;   Parent Loop BB2_4 Depth=1
                                        ;     Parent Loop BB2_33 Depth=2
                                        ; =>    This Inner Loop Header: Depth=3
	s_add_u32 s24, s0, s20
	s_addc_u32 s25, s1, s21
	global_load_ubyte v2, v3, s[24:25]
	s_add_u32 s20, s20, 1
	s_addc_u32 s21, s21, 0
	s_waitcnt vmcnt(0)
	v_and_b32_e32 v2, 0xffff, v2
	v_lshlrev_b64 v[4:5], s18, v[2:3]
	s_add_u32 s18, s18, 8
	s_addc_u32 s19, s19, 0
	v_or_b32_e32 v20, v4, v20
	s_cmp_lg_u32 s22, s20
	v_or_b32_e32 v21, v5, v21
	s_cbranch_scc1 .LBB2_43
	s_branch .LBB2_46
.LBB2_44:                               ;   in Loop: Header=BB2_33 Depth=2
                                        ; implicit-def: $vgpr20_vgpr21
                                        ; implicit-def: $sgpr23
	s_branch .LBB2_47
.LBB2_45:                               ;   in Loop: Header=BB2_33 Depth=2
	v_pk_mov_b32 v[20:21], 0, 0
.LBB2_46:                               ;   in Loop: Header=BB2_33 Depth=2
	s_mov_b32 s23, 0
	s_cbranch_execnz .LBB2_48
.LBB2_47:                               ;   in Loop: Header=BB2_33 Depth=2
	global_load_dwordx2 v[20:21], v3, s[0:1]
	s_add_i32 s23, s22, -8
	s_add_u32 s0, s0, 8
	s_addc_u32 s1, s1, 0
.LBB2_48:                               ;   in Loop: Header=BB2_33 Depth=2
	s_cmp_gt_u32 s23, 7
	s_cbranch_scc1 .LBB2_52
; %bb.49:                               ;   in Loop: Header=BB2_33 Depth=2
	s_cmp_eq_u32 s23, 0
	s_cbranch_scc1 .LBB2_53
; %bb.50:                               ;   in Loop: Header=BB2_33 Depth=2
	s_mov_b64 s[18:19], 0
	v_pk_mov_b32 v[22:23], 0, 0
	s_mov_b64 s[20:21], 0
.LBB2_51:                               ;   Parent Loop BB2_4 Depth=1
                                        ;     Parent Loop BB2_33 Depth=2
                                        ; =>    This Inner Loop Header: Depth=3
	s_add_u32 s24, s0, s20
	s_addc_u32 s25, s1, s21
	global_load_ubyte v2, v3, s[24:25]
	s_add_u32 s20, s20, 1
	s_addc_u32 s21, s21, 0
	s_waitcnt vmcnt(0)
	v_and_b32_e32 v2, 0xffff, v2
	v_lshlrev_b64 v[4:5], s18, v[2:3]
	s_add_u32 s18, s18, 8
	s_addc_u32 s19, s19, 0
	v_or_b32_e32 v22, v4, v22
	s_cmp_lg_u32 s23, s20
	v_or_b32_e32 v23, v5, v23
	s_cbranch_scc1 .LBB2_51
	s_branch .LBB2_54
.LBB2_52:                               ;   in Loop: Header=BB2_33 Depth=2
                                        ; implicit-def: $sgpr22
	s_branch .LBB2_55
.LBB2_53:                               ;   in Loop: Header=BB2_33 Depth=2
	v_pk_mov_b32 v[22:23], 0, 0
.LBB2_54:                               ;   in Loop: Header=BB2_33 Depth=2
	s_mov_b32 s22, 0
	s_cbranch_execnz .LBB2_56
.LBB2_55:                               ;   in Loop: Header=BB2_33 Depth=2
	global_load_dwordx2 v[22:23], v3, s[0:1]
	s_add_i32 s22, s23, -8
	s_add_u32 s0, s0, 8
	s_addc_u32 s1, s1, 0
.LBB2_56:                               ;   in Loop: Header=BB2_33 Depth=2
	s_cmp_gt_u32 s22, 7
	s_cbranch_scc1 .LBB2_60
; %bb.57:                               ;   in Loop: Header=BB2_33 Depth=2
	s_cmp_eq_u32 s22, 0
	s_cbranch_scc1 .LBB2_61
; %bb.58:                               ;   in Loop: Header=BB2_33 Depth=2
	s_mov_b64 s[18:19], 0
	v_pk_mov_b32 v[24:25], 0, 0
	s_mov_b64 s[20:21], 0
.LBB2_59:                               ;   Parent Loop BB2_4 Depth=1
                                        ;     Parent Loop BB2_33 Depth=2
                                        ; =>    This Inner Loop Header: Depth=3
	s_add_u32 s24, s0, s20
	s_addc_u32 s25, s1, s21
	global_load_ubyte v2, v3, s[24:25]
	s_add_u32 s20, s20, 1
	s_addc_u32 s21, s21, 0
	s_waitcnt vmcnt(0)
	v_and_b32_e32 v2, 0xffff, v2
	v_lshlrev_b64 v[4:5], s18, v[2:3]
	s_add_u32 s18, s18, 8
	s_addc_u32 s19, s19, 0
	v_or_b32_e32 v24, v4, v24
	s_cmp_lg_u32 s22, s20
	v_or_b32_e32 v25, v5, v25
	s_cbranch_scc1 .LBB2_59
	s_branch .LBB2_62
.LBB2_60:                               ;   in Loop: Header=BB2_33 Depth=2
                                        ; implicit-def: $vgpr24_vgpr25
                                        ; implicit-def: $sgpr23
	s_branch .LBB2_63
.LBB2_61:                               ;   in Loop: Header=BB2_33 Depth=2
	v_pk_mov_b32 v[24:25], 0, 0
.LBB2_62:                               ;   in Loop: Header=BB2_33 Depth=2
	s_mov_b32 s23, 0
	s_cbranch_execnz .LBB2_64
.LBB2_63:                               ;   in Loop: Header=BB2_33 Depth=2
	global_load_dwordx2 v[24:25], v3, s[0:1]
	s_add_i32 s23, s22, -8
	s_add_u32 s0, s0, 8
	s_addc_u32 s1, s1, 0
.LBB2_64:                               ;   in Loop: Header=BB2_33 Depth=2
	s_cmp_gt_u32 s23, 7
	s_cbranch_scc1 .LBB2_68
; %bb.65:                               ;   in Loop: Header=BB2_33 Depth=2
	s_cmp_eq_u32 s23, 0
	s_cbranch_scc1 .LBB2_69
; %bb.66:                               ;   in Loop: Header=BB2_33 Depth=2
	s_mov_b64 s[18:19], 0
	v_pk_mov_b32 v[26:27], 0, 0
	s_mov_b64 s[20:21], 0
.LBB2_67:                               ;   Parent Loop BB2_4 Depth=1
                                        ;     Parent Loop BB2_33 Depth=2
                                        ; =>    This Inner Loop Header: Depth=3
	s_add_u32 s24, s0, s20
	s_addc_u32 s25, s1, s21
	global_load_ubyte v2, v3, s[24:25]
	s_add_u32 s20, s20, 1
	s_addc_u32 s21, s21, 0
	s_waitcnt vmcnt(0)
	v_and_b32_e32 v2, 0xffff, v2
	v_lshlrev_b64 v[4:5], s18, v[2:3]
	s_add_u32 s18, s18, 8
	s_addc_u32 s19, s19, 0
	v_or_b32_e32 v26, v4, v26
	s_cmp_lg_u32 s23, s20
	v_or_b32_e32 v27, v5, v27
	s_cbranch_scc1 .LBB2_67
	s_branch .LBB2_70
.LBB2_68:                               ;   in Loop: Header=BB2_33 Depth=2
                                        ; implicit-def: $sgpr22
	s_branch .LBB2_71
.LBB2_69:                               ;   in Loop: Header=BB2_33 Depth=2
	v_pk_mov_b32 v[26:27], 0, 0
.LBB2_70:                               ;   in Loop: Header=BB2_33 Depth=2
	s_mov_b32 s22, 0
	s_cbranch_execnz .LBB2_72
.LBB2_71:                               ;   in Loop: Header=BB2_33 Depth=2
	global_load_dwordx2 v[26:27], v3, s[0:1]
	s_add_i32 s22, s23, -8
	s_add_u32 s0, s0, 8
	s_addc_u32 s1, s1, 0
.LBB2_72:                               ;   in Loop: Header=BB2_33 Depth=2
	s_cmp_gt_u32 s22, 7
	s_cbranch_scc1 .LBB2_76
; %bb.73:                               ;   in Loop: Header=BB2_33 Depth=2
	s_cmp_eq_u32 s22, 0
	s_cbranch_scc1 .LBB2_77
; %bb.74:                               ;   in Loop: Header=BB2_33 Depth=2
	s_mov_b64 s[18:19], 0
	v_pk_mov_b32 v[28:29], 0, 0
	s_mov_b64 s[20:21], 0
.LBB2_75:                               ;   Parent Loop BB2_4 Depth=1
                                        ;     Parent Loop BB2_33 Depth=2
                                        ; =>    This Inner Loop Header: Depth=3
	s_add_u32 s24, s0, s20
	s_addc_u32 s25, s1, s21
	global_load_ubyte v2, v3, s[24:25]
	s_add_u32 s20, s20, 1
	s_addc_u32 s21, s21, 0
	s_waitcnt vmcnt(0)
	v_and_b32_e32 v2, 0xffff, v2
	v_lshlrev_b64 v[4:5], s18, v[2:3]
	s_add_u32 s18, s18, 8
	s_addc_u32 s19, s19, 0
	v_or_b32_e32 v28, v4, v28
	s_cmp_lg_u32 s22, s20
	v_or_b32_e32 v29, v5, v29
	s_cbranch_scc1 .LBB2_75
	s_branch .LBB2_78
.LBB2_76:                               ;   in Loop: Header=BB2_33 Depth=2
                                        ; implicit-def: $vgpr28_vgpr29
                                        ; implicit-def: $sgpr23
	s_branch .LBB2_79
.LBB2_77:                               ;   in Loop: Header=BB2_33 Depth=2
	v_pk_mov_b32 v[28:29], 0, 0
.LBB2_78:                               ;   in Loop: Header=BB2_33 Depth=2
	s_mov_b32 s23, 0
	s_cbranch_execnz .LBB2_80
.LBB2_79:                               ;   in Loop: Header=BB2_33 Depth=2
	global_load_dwordx2 v[28:29], v3, s[0:1]
	s_add_i32 s23, s22, -8
	s_add_u32 s0, s0, 8
	s_addc_u32 s1, s1, 0
.LBB2_80:                               ;   in Loop: Header=BB2_33 Depth=2
	s_cmp_gt_u32 s23, 7
	s_cbranch_scc1 .LBB2_84
; %bb.81:                               ;   in Loop: Header=BB2_33 Depth=2
	s_cmp_eq_u32 s23, 0
	s_cbranch_scc1 .LBB2_85
; %bb.82:                               ;   in Loop: Header=BB2_33 Depth=2
	s_mov_b64 s[18:19], 0
	v_pk_mov_b32 v[30:31], 0, 0
	s_mov_b64 s[20:21], s[0:1]
.LBB2_83:                               ;   Parent Loop BB2_4 Depth=1
                                        ;     Parent Loop BB2_33 Depth=2
                                        ; =>    This Inner Loop Header: Depth=3
	global_load_ubyte v2, v3, s[20:21]
	s_add_i32 s23, s23, -1
	s_waitcnt vmcnt(0)
	v_and_b32_e32 v2, 0xffff, v2
	v_lshlrev_b64 v[4:5], s18, v[2:3]
	s_add_u32 s18, s18, 8
	s_addc_u32 s19, s19, 0
	s_add_u32 s20, s20, 1
	s_addc_u32 s21, s21, 0
	v_or_b32_e32 v30, v4, v30
	s_cmp_lg_u32 s23, 0
	v_or_b32_e32 v31, v5, v31
	s_cbranch_scc1 .LBB2_83
	s_branch .LBB2_86
.LBB2_84:                               ;   in Loop: Header=BB2_33 Depth=2
	s_branch .LBB2_87
.LBB2_85:                               ;   in Loop: Header=BB2_33 Depth=2
	v_pk_mov_b32 v[30:31], 0, 0
.LBB2_86:                               ;   in Loop: Header=BB2_33 Depth=2
	s_cbranch_execnz .LBB2_88
.LBB2_87:                               ;   in Loop: Header=BB2_33 Depth=2
	global_load_dwordx2 v[30:31], v3, s[0:1]
.LBB2_88:                               ;   in Loop: Header=BB2_33 Depth=2
	v_readfirstlane_b32 s0, v38
	v_cmp_eq_u32_e64 s[0:1], s0, v38
	v_pk_mov_b32 v[4:5], 0, 0
	s_and_saveexec_b64 s[18:19], s[0:1]
	s_cbranch_execz .LBB2_94
; %bb.89:                               ;   in Loop: Header=BB2_33 Depth=2
	global_load_dwordx2 v[34:35], v3, s[2:3] offset:24 glc
	s_waitcnt vmcnt(0)
	buffer_invl2
	buffer_wbinvl1_vol
	global_load_dwordx2 v[4:5], v3, s[2:3] offset:40
	global_load_dwordx2 v[32:33], v3, s[2:3]
	s_waitcnt vmcnt(1)
	v_and_b32_e32 v2, v4, v34
	v_and_b32_e32 v4, v5, v35
	v_mul_lo_u32 v4, v4, 24
	v_mul_hi_u32 v5, v2, 24
	v_mul_lo_u32 v2, v2, 24
	v_add_u32_e32 v5, v5, v4
	s_waitcnt vmcnt(0)
	v_add_co_u32_e32 v4, vcc, v32, v2
	v_addc_co_u32_e32 v5, vcc, v33, v5, vcc
	global_load_dwordx2 v[32:33], v[4:5], off glc
	s_waitcnt vmcnt(0)
	global_atomic_cmpswap_x2 v[4:5], v3, v[32:35], s[2:3] offset:24 glc
	s_waitcnt vmcnt(0)
	buffer_invl2
	buffer_wbinvl1_vol
	v_cmp_ne_u64_e32 vcc, v[4:5], v[34:35]
	s_and_saveexec_b64 s[20:21], vcc
	s_cbranch_execz .LBB2_93
; %bb.90:                               ;   in Loop: Header=BB2_33 Depth=2
	s_mov_b64 s[22:23], 0
.LBB2_91:                               ;   Parent Loop BB2_4 Depth=1
                                        ;     Parent Loop BB2_33 Depth=2
                                        ; =>    This Inner Loop Header: Depth=3
	s_sleep 1
	global_load_dwordx2 v[32:33], v3, s[2:3] offset:40
	global_load_dwordx2 v[40:41], v3, s[2:3]
	v_pk_mov_b32 v[34:35], v[4:5], v[4:5] op_sel:[0,1]
	s_waitcnt vmcnt(1)
	v_and_b32_e32 v2, v32, v34
	s_waitcnt vmcnt(0)
	v_mad_u64_u32 v[4:5], s[24:25], v2, 24, v[40:41]
	v_and_b32_e32 v33, v33, v35
	v_mov_b32_e32 v2, v5
	v_mad_u64_u32 v[32:33], s[24:25], v33, 24, v[2:3]
	v_mov_b32_e32 v5, v32
	global_load_dwordx2 v[32:33], v[4:5], off glc
	s_waitcnt vmcnt(0)
	global_atomic_cmpswap_x2 v[4:5], v3, v[32:35], s[2:3] offset:24 glc
	s_waitcnt vmcnt(0)
	buffer_invl2
	buffer_wbinvl1_vol
	v_cmp_eq_u64_e32 vcc, v[4:5], v[34:35]
	s_or_b64 s[22:23], vcc, s[22:23]
	s_andn2_b64 exec, exec, s[22:23]
	s_cbranch_execnz .LBB2_91
; %bb.92:                               ;   in Loop: Header=BB2_33 Depth=2
	s_or_b64 exec, exec, s[22:23]
.LBB2_93:                               ;   in Loop: Header=BB2_33 Depth=2
	s_or_b64 exec, exec, s[20:21]
.LBB2_94:                               ;   in Loop: Header=BB2_33 Depth=2
	s_or_b64 exec, exec, s[18:19]
	global_load_dwordx2 v[40:41], v3, s[2:3] offset:40
	global_load_dwordx4 v[32:35], v3, s[2:3]
	v_readfirstlane_b32 s18, v4
	v_readfirstlane_b32 s19, v5
	s_mov_b64 s[20:21], exec
	s_waitcnt vmcnt(1)
	v_readfirstlane_b32 s22, v40
	v_readfirstlane_b32 s23, v41
	s_and_b64 s[22:23], s[18:19], s[22:23]
	s_mul_i32 s24, s23, 24
	s_mul_hi_u32 s25, s22, 24
	s_mul_i32 s30, s22, 24
	s_add_i32 s24, s25, s24
	v_mov_b32_e32 v2, s24
	s_waitcnt vmcnt(0)
	v_add_co_u32_e32 v40, vcc, s30, v32
	v_addc_co_u32_e32 v41, vcc, v33, v2, vcc
	s_and_saveexec_b64 s[24:25], s[0:1]
	s_cbranch_execz .LBB2_96
; %bb.95:                               ;   in Loop: Header=BB2_33 Depth=2
	v_pk_mov_b32 v[4:5], s[20:21], s[20:21] op_sel:[0,1]
	global_store_dwordx4 v[40:41], v[4:7], off offset:8
.LBB2_96:                               ;   in Loop: Header=BB2_33 Depth=2
	s_or_b64 exec, exec, s[24:25]
	s_lshl_b64 s[20:21], s[22:23], 12
	v_mov_b32_e32 v2, s21
	v_add_co_u32_e32 v4, vcc, s20, v34
	v_addc_co_u32_e32 v5, vcc, v35, v2, vcc
	v_or_b32_e32 v2, 0, v17
	v_or_b32_e32 v34, v16, v36
	v_cmp_gt_u64_e64 vcc, s[14:15], 56
	s_lshl_b32 s20, s16, 2
	v_cndmask_b32_e32 v17, v2, v17, vcc
	v_cndmask_b32_e32 v2, v34, v16, vcc
	s_add_i32 s20, s20, 28
	s_and_b32 s20, s20, 0x1e0
	v_and_b32_e32 v2, 0xffffff1f, v2
	v_or_b32_e32 v16, s20, v2
	v_readfirstlane_b32 s20, v4
	v_readfirstlane_b32 s21, v5
	s_nop 4
	global_store_dwordx4 v39, v[16:19], s[20:21]
	global_store_dwordx4 v39, v[20:23], s[20:21] offset:16
	global_store_dwordx4 v39, v[24:27], s[20:21] offset:32
	;; [unrolled: 1-line block ×3, first 2 shown]
	s_and_saveexec_b64 s[20:21], s[0:1]
	s_cbranch_execz .LBB2_104
; %bb.97:                               ;   in Loop: Header=BB2_33 Depth=2
	global_load_dwordx2 v[24:25], v3, s[2:3] offset:32 glc
	global_load_dwordx2 v[16:17], v3, s[2:3] offset:40
	v_mov_b32_e32 v22, s18
	v_mov_b32_e32 v23, s19
	s_waitcnt vmcnt(0)
	v_readfirstlane_b32 s22, v16
	v_readfirstlane_b32 s23, v17
	s_and_b64 s[22:23], s[22:23], s[18:19]
	s_mul_i32 s23, s23, 24
	s_mul_hi_u32 s24, s22, 24
	s_mul_i32 s22, s22, 24
	s_add_i32 s23, s24, s23
	v_mov_b32_e32 v2, s23
	v_add_co_u32_e32 v20, vcc, s22, v32
	v_addc_co_u32_e32 v21, vcc, v33, v2, vcc
	global_store_dwordx2 v[20:21], v[24:25], off
	buffer_wbl2
	s_waitcnt vmcnt(0)
	global_atomic_cmpswap_x2 v[18:19], v3, v[22:25], s[2:3] offset:32 glc
	s_waitcnt vmcnt(0)
	v_cmp_ne_u64_e32 vcc, v[18:19], v[24:25]
	s_and_saveexec_b64 s[22:23], vcc
	s_cbranch_execz .LBB2_100
; %bb.98:                               ;   in Loop: Header=BB2_33 Depth=2
	s_mov_b64 s[24:25], 0
.LBB2_99:                               ;   Parent Loop BB2_4 Depth=1
                                        ;     Parent Loop BB2_33 Depth=2
                                        ; =>    This Inner Loop Header: Depth=3
	s_sleep 1
	global_store_dwordx2 v[20:21], v[18:19], off
	v_mov_b32_e32 v16, s18
	v_mov_b32_e32 v17, s19
	buffer_wbl2
	s_waitcnt vmcnt(0)
	global_atomic_cmpswap_x2 v[16:17], v3, v[16:19], s[2:3] offset:32 glc
	s_waitcnt vmcnt(0)
	v_cmp_eq_u64_e32 vcc, v[16:17], v[18:19]
	s_or_b64 s[24:25], vcc, s[24:25]
	v_pk_mov_b32 v[18:19], v[16:17], v[16:17] op_sel:[0,1]
	s_andn2_b64 exec, exec, s[24:25]
	s_cbranch_execnz .LBB2_99
.LBB2_100:                              ;   in Loop: Header=BB2_33 Depth=2
	s_or_b64 exec, exec, s[22:23]
	global_load_dwordx2 v[16:17], v3, s[2:3] offset:16
	s_mov_b64 s[24:25], exec
	v_mbcnt_lo_u32_b32 v2, s24, 0
	v_mbcnt_hi_u32_b32 v2, s25, v2
	v_cmp_eq_u32_e32 vcc, 0, v2
	s_and_saveexec_b64 s[22:23], vcc
	s_cbranch_execz .LBB2_102
; %bb.101:                              ;   in Loop: Header=BB2_33 Depth=2
	s_bcnt1_i32_b64 s24, s[24:25]
	v_mov_b32_e32 v2, s24
	buffer_wbl2
	s_waitcnt vmcnt(0)
	global_atomic_add_x2 v[16:17], v[2:3], off offset:8
.LBB2_102:                              ;   in Loop: Header=BB2_33 Depth=2
	s_or_b64 exec, exec, s[22:23]
	s_waitcnt vmcnt(0)
	global_load_dwordx2 v[18:19], v[16:17], off offset:16
	s_waitcnt vmcnt(0)
	v_cmp_eq_u64_e32 vcc, 0, v[18:19]
	s_cbranch_vccnz .LBB2_104
; %bb.103:                              ;   in Loop: Header=BB2_33 Depth=2
	global_load_dword v2, v[16:17], off offset:24
	buffer_wbl2
	s_waitcnt vmcnt(0)
	global_store_dwordx2 v[18:19], v[2:3], off
	v_and_b32_e32 v2, 0xffffff, v2
	v_readfirstlane_b32 m0, v2
	s_sendmsg sendmsg(MSG_INTERRUPT)
.LBB2_104:                              ;   in Loop: Header=BB2_33 Depth=2
	s_or_b64 exec, exec, s[20:21]
	v_add_co_u32_e32 v4, vcc, v4, v39
	v_addc_co_u32_e32 v5, vcc, 0, v5, vcc
	s_branch .LBB2_108
.LBB2_105:                              ;   in Loop: Header=BB2_108 Depth=3
	s_or_b64 exec, exec, s[20:21]
	v_readfirstlane_b32 s20, v2
	s_cmp_eq_u32 s20, 0
	s_cbranch_scc1 .LBB2_107
; %bb.106:                              ;   in Loop: Header=BB2_108 Depth=3
	s_sleep 1
	s_cbranch_execnz .LBB2_108
	s_branch .LBB2_110
.LBB2_107:                              ;   in Loop: Header=BB2_33 Depth=2
	s_branch .LBB2_110
.LBB2_108:                              ;   Parent Loop BB2_4 Depth=1
                                        ;     Parent Loop BB2_33 Depth=2
                                        ; =>    This Inner Loop Header: Depth=3
	v_mov_b32_e32 v2, 1
	s_and_saveexec_b64 s[20:21], s[0:1]
	s_cbranch_execz .LBB2_105
; %bb.109:                              ;   in Loop: Header=BB2_108 Depth=3
	global_load_dword v2, v[40:41], off offset:20 glc
	s_waitcnt vmcnt(0)
	buffer_invl2
	buffer_wbinvl1_vol
	v_and_b32_e32 v2, 1, v2
	s_branch .LBB2_105
.LBB2_110:                              ;   in Loop: Header=BB2_33 Depth=2
	global_load_dwordx4 v[16:19], v[4:5], off
	s_and_saveexec_b64 s[20:21], s[0:1]
	s_cbranch_execz .LBB2_32
; %bb.111:                              ;   in Loop: Header=BB2_33 Depth=2
	global_load_dwordx2 v[4:5], v3, s[2:3] offset:40
	global_load_dwordx2 v[22:23], v3, s[2:3] offset:24 glc
	global_load_dwordx2 v[24:25], v3, s[2:3]
	v_mov_b32_e32 v2, s19
	s_waitcnt vmcnt(2)
	v_add_co_u32_e32 v21, vcc, 1, v4
	v_addc_co_u32_e32 v26, vcc, 0, v5, vcc
	v_add_co_u32_e32 v18, vcc, s18, v21
	v_addc_co_u32_e32 v19, vcc, v26, v2, vcc
	v_cmp_eq_u64_e32 vcc, 0, v[18:19]
	v_cndmask_b32_e32 v19, v19, v26, vcc
	v_cndmask_b32_e32 v18, v18, v21, vcc
	v_and_b32_e32 v2, v19, v5
	v_and_b32_e32 v4, v18, v4
	v_mul_lo_u32 v2, v2, 24
	v_mul_hi_u32 v5, v4, 24
	v_mul_lo_u32 v4, v4, 24
	v_add_u32_e32 v2, v5, v2
	s_waitcnt vmcnt(0)
	v_add_co_u32_e32 v4, vcc, v24, v4
	v_addc_co_u32_e32 v5, vcc, v25, v2, vcc
	v_mov_b32_e32 v20, v22
	global_store_dwordx2 v[4:5], v[22:23], off
	v_mov_b32_e32 v21, v23
	buffer_wbl2
	s_waitcnt vmcnt(0)
	global_atomic_cmpswap_x2 v[20:21], v3, v[18:21], s[2:3] offset:24 glc
	s_waitcnt vmcnt(0)
	v_cmp_ne_u64_e32 vcc, v[20:21], v[22:23]
	s_and_b64 exec, exec, vcc
	s_cbranch_execz .LBB2_32
; %bb.112:                              ;   in Loop: Header=BB2_33 Depth=2
	s_mov_b64 s[0:1], 0
.LBB2_113:                              ;   Parent Loop BB2_4 Depth=1
                                        ;     Parent Loop BB2_33 Depth=2
                                        ; =>    This Inner Loop Header: Depth=3
	s_sleep 1
	global_store_dwordx2 v[4:5], v[20:21], off
	buffer_wbl2
	s_waitcnt vmcnt(0)
	global_atomic_cmpswap_x2 v[22:23], v3, v[18:21], s[2:3] offset:24 glc
	s_waitcnt vmcnt(0)
	v_cmp_eq_u64_e32 vcc, v[22:23], v[20:21]
	s_or_b64 s[0:1], vcc, s[0:1]
	v_pk_mov_b32 v[20:21], v[22:23], v[22:23] op_sel:[0,1]
	s_andn2_b64 exec, exec, s[0:1]
	s_cbranch_execnz .LBB2_113
	s_branch .LBB2_32
.LBB2_114:                              ;   in Loop: Header=BB2_4 Depth=1
.LBB2_115:                              ;   in Loop: Header=BB2_4 Depth=1
	s_and_b64 vcc, exec, s[10:11]
	s_cbranch_vccz .LBB2_228
.LBB2_116:                              ;   in Loop: Header=BB2_4 Depth=1
	s_waitcnt vmcnt(0)
	v_and_b32_e32 v18, -3, v16
	v_mov_b32_e32 v19, v17
	s_mov_b64 s[14:15], 56
	s_getpc_b64 s[12:13]
	s_add_u32 s12, s12, .str.2@rel32@lo+4
	s_addc_u32 s13, s13, .str.2@rel32@hi+12
	s_branch .LBB2_118
.LBB2_117:                              ;   in Loop: Header=BB2_118 Depth=2
	s_or_b64 exec, exec, s[20:21]
	s_sub_u32 s14, s14, s16
	s_subb_u32 s15, s15, s17
	s_add_u32 s12, s12, s16
	s_addc_u32 s13, s13, s17
	s_cmp_lg_u64 s[14:15], 0
	s_cbranch_scc0 .LBB2_199
.LBB2_118:                              ;   Parent Loop BB2_4 Depth=1
                                        ; =>  This Loop Header: Depth=2
                                        ;       Child Loop BB2_121 Depth 3
                                        ;       Child Loop BB2_128 Depth 3
	;; [unrolled: 1-line block ×11, first 2 shown]
	v_cmp_lt_u64_e64 s[0:1], s[14:15], 56
	s_and_b64 s[0:1], s[0:1], exec
	v_cmp_gt_u64_e64 s[0:1], s[14:15], 7
	s_cselect_b32 s17, s15, 0
	s_cselect_b32 s16, s14, 56
	s_and_b64 vcc, exec, s[0:1]
	s_cbranch_vccnz .LBB2_123
; %bb.119:                              ;   in Loop: Header=BB2_118 Depth=2
	s_mov_b64 s[0:1], 0
	s_cmp_eq_u64 s[14:15], 0
	s_waitcnt vmcnt(0)
	v_pk_mov_b32 v[20:21], 0, 0
	s_cbranch_scc1 .LBB2_122
; %bb.120:                              ;   in Loop: Header=BB2_118 Depth=2
	s_lshl_b64 s[18:19], s[16:17], 3
	s_mov_b64 s[20:21], 0
	v_pk_mov_b32 v[20:21], 0, 0
	s_mov_b64 s[22:23], s[12:13]
.LBB2_121:                              ;   Parent Loop BB2_4 Depth=1
                                        ;     Parent Loop BB2_118 Depth=2
                                        ; =>    This Inner Loop Header: Depth=3
	global_load_ubyte v0, v3, s[22:23]
	s_waitcnt vmcnt(0)
	v_and_b32_e32 v2, 0xffff, v0
	v_lshlrev_b64 v[0:1], s20, v[2:3]
	s_add_u32 s20, s20, 8
	s_addc_u32 s21, s21, 0
	s_add_u32 s22, s22, 1
	s_addc_u32 s23, s23, 0
	v_or_b32_e32 v20, v0, v20
	s_cmp_lg_u32 s18, s20
	v_or_b32_e32 v21, v1, v21
	s_cbranch_scc1 .LBB2_121
.LBB2_122:                              ;   in Loop: Header=BB2_118 Depth=2
	s_mov_b32 s22, 0
	s_andn2_b64 vcc, exec, s[0:1]
	s_mov_b64 s[0:1], s[12:13]
	s_cbranch_vccz .LBB2_124
	s_branch .LBB2_125
.LBB2_123:                              ;   in Loop: Header=BB2_118 Depth=2
                                        ; implicit-def: $sgpr22
	s_mov_b64 s[0:1], s[12:13]
.LBB2_124:                              ;   in Loop: Header=BB2_118 Depth=2
	global_load_dwordx2 v[20:21], v3, s[12:13]
	s_add_i32 s22, s16, -8
	s_add_u32 s0, s12, 8
	s_addc_u32 s1, s13, 0
.LBB2_125:                              ;   in Loop: Header=BB2_118 Depth=2
	s_cmp_gt_u32 s22, 7
	s_cbranch_scc1 .LBB2_129
; %bb.126:                              ;   in Loop: Header=BB2_118 Depth=2
	s_cmp_eq_u32 s22, 0
	s_cbranch_scc1 .LBB2_130
; %bb.127:                              ;   in Loop: Header=BB2_118 Depth=2
	s_mov_b64 s[18:19], 0
	v_pk_mov_b32 v[22:23], 0, 0
	s_mov_b64 s[20:21], 0
.LBB2_128:                              ;   Parent Loop BB2_4 Depth=1
                                        ;     Parent Loop BB2_118 Depth=2
                                        ; =>    This Inner Loop Header: Depth=3
	s_add_u32 s24, s0, s20
	s_addc_u32 s25, s1, s21
	global_load_ubyte v0, v3, s[24:25]
	s_add_u32 s20, s20, 1
	s_addc_u32 s21, s21, 0
	s_waitcnt vmcnt(0)
	v_and_b32_e32 v2, 0xffff, v0
	v_lshlrev_b64 v[0:1], s18, v[2:3]
	s_add_u32 s18, s18, 8
	s_addc_u32 s19, s19, 0
	v_or_b32_e32 v22, v0, v22
	s_cmp_lg_u32 s22, s20
	v_or_b32_e32 v23, v1, v23
	s_cbranch_scc1 .LBB2_128
	s_branch .LBB2_131
.LBB2_129:                              ;   in Loop: Header=BB2_118 Depth=2
                                        ; implicit-def: $vgpr22_vgpr23
                                        ; implicit-def: $sgpr23
	s_branch .LBB2_132
.LBB2_130:                              ;   in Loop: Header=BB2_118 Depth=2
	v_pk_mov_b32 v[22:23], 0, 0
.LBB2_131:                              ;   in Loop: Header=BB2_118 Depth=2
	s_mov_b32 s23, 0
	s_cbranch_execnz .LBB2_133
.LBB2_132:                              ;   in Loop: Header=BB2_118 Depth=2
	global_load_dwordx2 v[22:23], v3, s[0:1]
	s_add_i32 s23, s22, -8
	s_add_u32 s0, s0, 8
	s_addc_u32 s1, s1, 0
.LBB2_133:                              ;   in Loop: Header=BB2_118 Depth=2
	s_cmp_gt_u32 s23, 7
	s_cbranch_scc1 .LBB2_137
; %bb.134:                              ;   in Loop: Header=BB2_118 Depth=2
	s_cmp_eq_u32 s23, 0
	s_cbranch_scc1 .LBB2_138
; %bb.135:                              ;   in Loop: Header=BB2_118 Depth=2
	s_mov_b64 s[18:19], 0
	v_pk_mov_b32 v[24:25], 0, 0
	s_mov_b64 s[20:21], 0
.LBB2_136:                              ;   Parent Loop BB2_4 Depth=1
                                        ;     Parent Loop BB2_118 Depth=2
                                        ; =>    This Inner Loop Header: Depth=3
	s_add_u32 s24, s0, s20
	s_addc_u32 s25, s1, s21
	global_load_ubyte v0, v3, s[24:25]
	s_add_u32 s20, s20, 1
	s_addc_u32 s21, s21, 0
	s_waitcnt vmcnt(0)
	v_and_b32_e32 v2, 0xffff, v0
	v_lshlrev_b64 v[0:1], s18, v[2:3]
	s_add_u32 s18, s18, 8
	s_addc_u32 s19, s19, 0
	v_or_b32_e32 v24, v0, v24
	s_cmp_lg_u32 s23, s20
	v_or_b32_e32 v25, v1, v25
	s_cbranch_scc1 .LBB2_136
	s_branch .LBB2_139
.LBB2_137:                              ;   in Loop: Header=BB2_118 Depth=2
                                        ; implicit-def: $sgpr22
	s_branch .LBB2_140
.LBB2_138:                              ;   in Loop: Header=BB2_118 Depth=2
	v_pk_mov_b32 v[24:25], 0, 0
.LBB2_139:                              ;   in Loop: Header=BB2_118 Depth=2
	s_mov_b32 s22, 0
	s_cbranch_execnz .LBB2_141
.LBB2_140:                              ;   in Loop: Header=BB2_118 Depth=2
	global_load_dwordx2 v[24:25], v3, s[0:1]
	s_add_i32 s22, s23, -8
	s_add_u32 s0, s0, 8
	s_addc_u32 s1, s1, 0
.LBB2_141:                              ;   in Loop: Header=BB2_118 Depth=2
	s_cmp_gt_u32 s22, 7
	s_cbranch_scc1 .LBB2_145
; %bb.142:                              ;   in Loop: Header=BB2_118 Depth=2
	s_cmp_eq_u32 s22, 0
	s_cbranch_scc1 .LBB2_146
; %bb.143:                              ;   in Loop: Header=BB2_118 Depth=2
	s_mov_b64 s[18:19], 0
	v_pk_mov_b32 v[26:27], 0, 0
	s_mov_b64 s[20:21], 0
.LBB2_144:                              ;   Parent Loop BB2_4 Depth=1
                                        ;     Parent Loop BB2_118 Depth=2
                                        ; =>    This Inner Loop Header: Depth=3
	s_add_u32 s24, s0, s20
	s_addc_u32 s25, s1, s21
	global_load_ubyte v0, v3, s[24:25]
	s_add_u32 s20, s20, 1
	s_addc_u32 s21, s21, 0
	s_waitcnt vmcnt(0)
	v_and_b32_e32 v2, 0xffff, v0
	v_lshlrev_b64 v[0:1], s18, v[2:3]
	s_add_u32 s18, s18, 8
	s_addc_u32 s19, s19, 0
	v_or_b32_e32 v26, v0, v26
	s_cmp_lg_u32 s22, s20
	v_or_b32_e32 v27, v1, v27
	s_cbranch_scc1 .LBB2_144
	s_branch .LBB2_147
.LBB2_145:                              ;   in Loop: Header=BB2_118 Depth=2
                                        ; implicit-def: $vgpr26_vgpr27
                                        ; implicit-def: $sgpr23
	s_branch .LBB2_148
.LBB2_146:                              ;   in Loop: Header=BB2_118 Depth=2
	v_pk_mov_b32 v[26:27], 0, 0
.LBB2_147:                              ;   in Loop: Header=BB2_118 Depth=2
	s_mov_b32 s23, 0
	s_cbranch_execnz .LBB2_149
.LBB2_148:                              ;   in Loop: Header=BB2_118 Depth=2
	global_load_dwordx2 v[26:27], v3, s[0:1]
	s_add_i32 s23, s22, -8
	s_add_u32 s0, s0, 8
	s_addc_u32 s1, s1, 0
.LBB2_149:                              ;   in Loop: Header=BB2_118 Depth=2
	s_cmp_gt_u32 s23, 7
	s_cbranch_scc1 .LBB2_153
; %bb.150:                              ;   in Loop: Header=BB2_118 Depth=2
	s_cmp_eq_u32 s23, 0
	s_cbranch_scc1 .LBB2_154
; %bb.151:                              ;   in Loop: Header=BB2_118 Depth=2
	s_mov_b64 s[18:19], 0
	v_pk_mov_b32 v[28:29], 0, 0
	s_mov_b64 s[20:21], 0
.LBB2_152:                              ;   Parent Loop BB2_4 Depth=1
                                        ;     Parent Loop BB2_118 Depth=2
                                        ; =>    This Inner Loop Header: Depth=3
	s_add_u32 s24, s0, s20
	s_addc_u32 s25, s1, s21
	global_load_ubyte v0, v3, s[24:25]
	s_add_u32 s20, s20, 1
	s_addc_u32 s21, s21, 0
	s_waitcnt vmcnt(0)
	v_and_b32_e32 v2, 0xffff, v0
	v_lshlrev_b64 v[0:1], s18, v[2:3]
	s_add_u32 s18, s18, 8
	s_addc_u32 s19, s19, 0
	v_or_b32_e32 v28, v0, v28
	s_cmp_lg_u32 s23, s20
	v_or_b32_e32 v29, v1, v29
	s_cbranch_scc1 .LBB2_152
	s_branch .LBB2_155
.LBB2_153:                              ;   in Loop: Header=BB2_118 Depth=2
                                        ; implicit-def: $sgpr22
	s_branch .LBB2_156
.LBB2_154:                              ;   in Loop: Header=BB2_118 Depth=2
	v_pk_mov_b32 v[28:29], 0, 0
.LBB2_155:                              ;   in Loop: Header=BB2_118 Depth=2
	s_mov_b32 s22, 0
	s_cbranch_execnz .LBB2_157
.LBB2_156:                              ;   in Loop: Header=BB2_118 Depth=2
	global_load_dwordx2 v[28:29], v3, s[0:1]
	s_add_i32 s22, s23, -8
	s_add_u32 s0, s0, 8
	s_addc_u32 s1, s1, 0
.LBB2_157:                              ;   in Loop: Header=BB2_118 Depth=2
	s_cmp_gt_u32 s22, 7
	s_cbranch_scc1 .LBB2_161
; %bb.158:                              ;   in Loop: Header=BB2_118 Depth=2
	s_cmp_eq_u32 s22, 0
	s_cbranch_scc1 .LBB2_162
; %bb.159:                              ;   in Loop: Header=BB2_118 Depth=2
	s_mov_b64 s[18:19], 0
	v_pk_mov_b32 v[30:31], 0, 0
	s_mov_b64 s[20:21], 0
.LBB2_160:                              ;   Parent Loop BB2_4 Depth=1
                                        ;     Parent Loop BB2_118 Depth=2
                                        ; =>    This Inner Loop Header: Depth=3
	s_add_u32 s24, s0, s20
	s_addc_u32 s25, s1, s21
	global_load_ubyte v0, v3, s[24:25]
	s_add_u32 s20, s20, 1
	s_addc_u32 s21, s21, 0
	s_waitcnt vmcnt(0)
	v_and_b32_e32 v2, 0xffff, v0
	v_lshlrev_b64 v[0:1], s18, v[2:3]
	s_add_u32 s18, s18, 8
	s_addc_u32 s19, s19, 0
	v_or_b32_e32 v30, v0, v30
	s_cmp_lg_u32 s22, s20
	v_or_b32_e32 v31, v1, v31
	s_cbranch_scc1 .LBB2_160
	s_branch .LBB2_163
.LBB2_161:                              ;   in Loop: Header=BB2_118 Depth=2
                                        ; implicit-def: $vgpr30_vgpr31
                                        ; implicit-def: $sgpr23
	s_branch .LBB2_164
.LBB2_162:                              ;   in Loop: Header=BB2_118 Depth=2
	v_pk_mov_b32 v[30:31], 0, 0
.LBB2_163:                              ;   in Loop: Header=BB2_118 Depth=2
	s_mov_b32 s23, 0
	s_cbranch_execnz .LBB2_165
.LBB2_164:                              ;   in Loop: Header=BB2_118 Depth=2
	global_load_dwordx2 v[30:31], v3, s[0:1]
	s_add_i32 s23, s22, -8
	s_add_u32 s0, s0, 8
	s_addc_u32 s1, s1, 0
.LBB2_165:                              ;   in Loop: Header=BB2_118 Depth=2
	s_cmp_gt_u32 s23, 7
	s_cbranch_scc1 .LBB2_169
; %bb.166:                              ;   in Loop: Header=BB2_118 Depth=2
	s_cmp_eq_u32 s23, 0
	s_cbranch_scc1 .LBB2_170
; %bb.167:                              ;   in Loop: Header=BB2_118 Depth=2
	s_mov_b64 s[18:19], 0
	v_pk_mov_b32 v[32:33], 0, 0
	s_mov_b64 s[20:21], s[0:1]
.LBB2_168:                              ;   Parent Loop BB2_4 Depth=1
                                        ;     Parent Loop BB2_118 Depth=2
                                        ; =>    This Inner Loop Header: Depth=3
	global_load_ubyte v0, v3, s[20:21]
	s_add_i32 s23, s23, -1
	s_waitcnt vmcnt(0)
	v_and_b32_e32 v2, 0xffff, v0
	v_lshlrev_b64 v[0:1], s18, v[2:3]
	s_add_u32 s18, s18, 8
	s_addc_u32 s19, s19, 0
	s_add_u32 s20, s20, 1
	s_addc_u32 s21, s21, 0
	v_or_b32_e32 v32, v0, v32
	s_cmp_lg_u32 s23, 0
	v_or_b32_e32 v33, v1, v33
	s_cbranch_scc1 .LBB2_168
	s_branch .LBB2_171
.LBB2_169:                              ;   in Loop: Header=BB2_118 Depth=2
	s_branch .LBB2_172
.LBB2_170:                              ;   in Loop: Header=BB2_118 Depth=2
	v_pk_mov_b32 v[32:33], 0, 0
.LBB2_171:                              ;   in Loop: Header=BB2_118 Depth=2
	s_cbranch_execnz .LBB2_173
.LBB2_172:                              ;   in Loop: Header=BB2_118 Depth=2
	global_load_dwordx2 v[32:33], v3, s[0:1]
.LBB2_173:                              ;   in Loop: Header=BB2_118 Depth=2
	v_readfirstlane_b32 s0, v38
	v_cmp_eq_u32_e64 s[0:1], s0, v38
	v_pk_mov_b32 v[0:1], 0, 0
	s_and_saveexec_b64 s[18:19], s[0:1]
	s_cbranch_execz .LBB2_179
; %bb.174:                              ;   in Loop: Header=BB2_118 Depth=2
	global_load_dwordx2 v[36:37], v3, s[2:3] offset:24 glc
	s_waitcnt vmcnt(0)
	buffer_invl2
	buffer_wbinvl1_vol
	global_load_dwordx2 v[0:1], v3, s[2:3] offset:40
	global_load_dwordx2 v[4:5], v3, s[2:3]
	s_waitcnt vmcnt(1)
	v_and_b32_e32 v0, v0, v36
	v_and_b32_e32 v1, v1, v37
	v_mul_lo_u32 v1, v1, 24
	v_mul_hi_u32 v2, v0, 24
	v_mul_lo_u32 v0, v0, 24
	v_add_u32_e32 v1, v2, v1
	s_waitcnt vmcnt(0)
	v_add_co_u32_e32 v0, vcc, v4, v0
	v_addc_co_u32_e32 v1, vcc, v5, v1, vcc
	global_load_dwordx2 v[34:35], v[0:1], off glc
	s_waitcnt vmcnt(0)
	global_atomic_cmpswap_x2 v[0:1], v3, v[34:37], s[2:3] offset:24 glc
	s_waitcnt vmcnt(0)
	buffer_invl2
	buffer_wbinvl1_vol
	v_cmp_ne_u64_e32 vcc, v[0:1], v[36:37]
	s_and_saveexec_b64 s[20:21], vcc
	s_cbranch_execz .LBB2_178
; %bb.175:                              ;   in Loop: Header=BB2_118 Depth=2
	s_mov_b64 s[22:23], 0
.LBB2_176:                              ;   Parent Loop BB2_4 Depth=1
                                        ;     Parent Loop BB2_118 Depth=2
                                        ; =>    This Inner Loop Header: Depth=3
	s_sleep 1
	global_load_dwordx2 v[4:5], v3, s[2:3] offset:40
	global_load_dwordx2 v[34:35], v3, s[2:3]
	v_pk_mov_b32 v[36:37], v[0:1], v[0:1] op_sel:[0,1]
	s_waitcnt vmcnt(1)
	v_and_b32_e32 v0, v4, v36
	s_waitcnt vmcnt(0)
	v_mad_u64_u32 v[0:1], s[24:25], v0, 24, v[34:35]
	v_and_b32_e32 v5, v5, v37
	v_mov_b32_e32 v2, v1
	v_mad_u64_u32 v[4:5], s[24:25], v5, 24, v[2:3]
	v_mov_b32_e32 v1, v4
	global_load_dwordx2 v[34:35], v[0:1], off glc
	s_waitcnt vmcnt(0)
	global_atomic_cmpswap_x2 v[0:1], v3, v[34:37], s[2:3] offset:24 glc
	s_waitcnt vmcnt(0)
	buffer_invl2
	buffer_wbinvl1_vol
	v_cmp_eq_u64_e32 vcc, v[0:1], v[36:37]
	s_or_b64 s[22:23], vcc, s[22:23]
	s_andn2_b64 exec, exec, s[22:23]
	s_cbranch_execnz .LBB2_176
; %bb.177:                              ;   in Loop: Header=BB2_118 Depth=2
	s_or_b64 exec, exec, s[22:23]
.LBB2_178:                              ;   in Loop: Header=BB2_118 Depth=2
	s_or_b64 exec, exec, s[20:21]
.LBB2_179:                              ;   in Loop: Header=BB2_118 Depth=2
	s_or_b64 exec, exec, s[18:19]
	global_load_dwordx2 v[4:5], v3, s[2:3] offset:40
	global_load_dwordx4 v[34:37], v3, s[2:3]
	v_readfirstlane_b32 s18, v0
	v_readfirstlane_b32 s19, v1
	s_mov_b64 s[20:21], exec
	s_waitcnt vmcnt(1)
	v_readfirstlane_b32 s22, v4
	v_readfirstlane_b32 s23, v5
	s_and_b64 s[22:23], s[18:19], s[22:23]
	s_mul_i32 s24, s23, 24
	s_mul_hi_u32 s25, s22, 24
	s_mul_i32 s30, s22, 24
	s_add_i32 s24, s25, s24
	v_mov_b32_e32 v1, s24
	s_waitcnt vmcnt(0)
	v_add_co_u32_e32 v0, vcc, s30, v34
	v_addc_co_u32_e32 v1, vcc, v35, v1, vcc
	s_and_saveexec_b64 s[24:25], s[0:1]
	s_cbranch_execz .LBB2_181
; %bb.180:                              ;   in Loop: Header=BB2_118 Depth=2
	v_pk_mov_b32 v[4:5], s[20:21], s[20:21] op_sel:[0,1]
	global_store_dwordx4 v[0:1], v[4:7], off offset:8
.LBB2_181:                              ;   in Loop: Header=BB2_118 Depth=2
	s_or_b64 exec, exec, s[24:25]
	s_lshl_b64 s[20:21], s[22:23], 12
	v_mov_b32_e32 v2, s21
	v_add_co_u32_e32 v4, vcc, s20, v36
	v_addc_co_u32_e32 v5, vcc, v37, v2, vcc
	v_or_b32_e32 v2, 2, v18
	v_cmp_gt_u64_e64 vcc, s[14:15], 56
	s_lshl_b32 s20, s16, 2
	v_cndmask_b32_e32 v2, v2, v18, vcc
	s_add_i32 s20, s20, 28
	s_and_b32 s20, s20, 0x1e0
	v_and_b32_e32 v2, 0xffffff1f, v2
	v_or_b32_e32 v18, s20, v2
	v_readfirstlane_b32 s20, v4
	v_readfirstlane_b32 s21, v5
	s_nop 4
	global_store_dwordx4 v39, v[18:21], s[20:21]
	global_store_dwordx4 v39, v[22:25], s[20:21] offset:16
	global_store_dwordx4 v39, v[26:29], s[20:21] offset:32
	;; [unrolled: 1-line block ×3, first 2 shown]
	s_and_saveexec_b64 s[20:21], s[0:1]
	s_cbranch_execz .LBB2_189
; %bb.182:                              ;   in Loop: Header=BB2_118 Depth=2
	global_load_dwordx2 v[26:27], v3, s[2:3] offset:32 glc
	global_load_dwordx2 v[18:19], v3, s[2:3] offset:40
	v_mov_b32_e32 v24, s18
	v_mov_b32_e32 v25, s19
	s_waitcnt vmcnt(0)
	v_readfirstlane_b32 s22, v18
	v_readfirstlane_b32 s23, v19
	s_and_b64 s[22:23], s[22:23], s[18:19]
	s_mul_i32 s23, s23, 24
	s_mul_hi_u32 s24, s22, 24
	s_mul_i32 s22, s22, 24
	s_add_i32 s23, s24, s23
	v_mov_b32_e32 v2, s23
	v_add_co_u32_e32 v22, vcc, s22, v34
	v_addc_co_u32_e32 v23, vcc, v35, v2, vcc
	global_store_dwordx2 v[22:23], v[26:27], off
	buffer_wbl2
	s_waitcnt vmcnt(0)
	global_atomic_cmpswap_x2 v[20:21], v3, v[24:27], s[2:3] offset:32 glc
	s_waitcnt vmcnt(0)
	v_cmp_ne_u64_e32 vcc, v[20:21], v[26:27]
	s_and_saveexec_b64 s[22:23], vcc
	s_cbranch_execz .LBB2_185
; %bb.183:                              ;   in Loop: Header=BB2_118 Depth=2
	s_mov_b64 s[24:25], 0
.LBB2_184:                              ;   Parent Loop BB2_4 Depth=1
                                        ;     Parent Loop BB2_118 Depth=2
                                        ; =>    This Inner Loop Header: Depth=3
	s_sleep 1
	global_store_dwordx2 v[22:23], v[20:21], off
	v_mov_b32_e32 v18, s18
	v_mov_b32_e32 v19, s19
	buffer_wbl2
	s_waitcnt vmcnt(0)
	global_atomic_cmpswap_x2 v[18:19], v3, v[18:21], s[2:3] offset:32 glc
	s_waitcnt vmcnt(0)
	v_cmp_eq_u64_e32 vcc, v[18:19], v[20:21]
	s_or_b64 s[24:25], vcc, s[24:25]
	v_pk_mov_b32 v[20:21], v[18:19], v[18:19] op_sel:[0,1]
	s_andn2_b64 exec, exec, s[24:25]
	s_cbranch_execnz .LBB2_184
.LBB2_185:                              ;   in Loop: Header=BB2_118 Depth=2
	s_or_b64 exec, exec, s[22:23]
	global_load_dwordx2 v[18:19], v3, s[2:3] offset:16
	s_mov_b64 s[24:25], exec
	v_mbcnt_lo_u32_b32 v2, s24, 0
	v_mbcnt_hi_u32_b32 v2, s25, v2
	v_cmp_eq_u32_e32 vcc, 0, v2
	s_and_saveexec_b64 s[22:23], vcc
	s_cbranch_execz .LBB2_187
; %bb.186:                              ;   in Loop: Header=BB2_118 Depth=2
	s_bcnt1_i32_b64 s24, s[24:25]
	v_mov_b32_e32 v2, s24
	buffer_wbl2
	s_waitcnt vmcnt(0)
	global_atomic_add_x2 v[18:19], v[2:3], off offset:8
.LBB2_187:                              ;   in Loop: Header=BB2_118 Depth=2
	s_or_b64 exec, exec, s[22:23]
	s_waitcnt vmcnt(0)
	global_load_dwordx2 v[20:21], v[18:19], off offset:16
	s_waitcnt vmcnt(0)
	v_cmp_eq_u64_e32 vcc, 0, v[20:21]
	s_cbranch_vccnz .LBB2_189
; %bb.188:                              ;   in Loop: Header=BB2_118 Depth=2
	global_load_dword v2, v[18:19], off offset:24
	buffer_wbl2
	s_waitcnt vmcnt(0)
	global_store_dwordx2 v[20:21], v[2:3], off
	v_and_b32_e32 v2, 0xffffff, v2
	v_readfirstlane_b32 m0, v2
	s_sendmsg sendmsg(MSG_INTERRUPT)
.LBB2_189:                              ;   in Loop: Header=BB2_118 Depth=2
	s_or_b64 exec, exec, s[20:21]
	v_add_co_u32_e32 v4, vcc, v4, v39
	v_addc_co_u32_e32 v5, vcc, 0, v5, vcc
	s_branch .LBB2_193
.LBB2_190:                              ;   in Loop: Header=BB2_193 Depth=3
	s_or_b64 exec, exec, s[20:21]
	v_readfirstlane_b32 s20, v2
	s_cmp_eq_u32 s20, 0
	s_cbranch_scc1 .LBB2_192
; %bb.191:                              ;   in Loop: Header=BB2_193 Depth=3
	s_sleep 1
	s_cbranch_execnz .LBB2_193
	s_branch .LBB2_195
.LBB2_192:                              ;   in Loop: Header=BB2_118 Depth=2
	s_branch .LBB2_195
.LBB2_193:                              ;   Parent Loop BB2_4 Depth=1
                                        ;     Parent Loop BB2_118 Depth=2
                                        ; =>    This Inner Loop Header: Depth=3
	v_mov_b32_e32 v2, 1
	s_and_saveexec_b64 s[20:21], s[0:1]
	s_cbranch_execz .LBB2_190
; %bb.194:                              ;   in Loop: Header=BB2_193 Depth=3
	global_load_dword v2, v[0:1], off offset:20 glc
	s_waitcnt vmcnt(0)
	buffer_invl2
	buffer_wbinvl1_vol
	v_and_b32_e32 v2, 1, v2
	s_branch .LBB2_190
.LBB2_195:                              ;   in Loop: Header=BB2_118 Depth=2
	global_load_dwordx4 v[18:21], v[4:5], off
	s_and_saveexec_b64 s[20:21], s[0:1]
	s_cbranch_execz .LBB2_117
; %bb.196:                              ;   in Loop: Header=BB2_118 Depth=2
	global_load_dwordx2 v[0:1], v3, s[2:3] offset:40
	global_load_dwordx2 v[4:5], v3, s[2:3] offset:24 glc
	global_load_dwordx2 v[24:25], v3, s[2:3]
	v_mov_b32_e32 v2, s19
	s_waitcnt vmcnt(2)
	v_add_co_u32_e32 v23, vcc, 1, v0
	v_addc_co_u32_e32 v26, vcc, 0, v1, vcc
	v_add_co_u32_e32 v20, vcc, s18, v23
	v_addc_co_u32_e32 v21, vcc, v26, v2, vcc
	v_cmp_eq_u64_e32 vcc, 0, v[20:21]
	v_cndmask_b32_e32 v21, v21, v26, vcc
	v_cndmask_b32_e32 v20, v20, v23, vcc
	v_and_b32_e32 v1, v21, v1
	v_and_b32_e32 v0, v20, v0
	v_mul_lo_u32 v1, v1, 24
	v_mul_hi_u32 v2, v0, 24
	v_mul_lo_u32 v0, v0, 24
	v_add_u32_e32 v1, v2, v1
	s_waitcnt vmcnt(0)
	v_add_co_u32_e32 v0, vcc, v24, v0
	v_addc_co_u32_e32 v1, vcc, v25, v1, vcc
	v_mov_b32_e32 v22, v4
	global_store_dwordx2 v[0:1], v[4:5], off
	v_mov_b32_e32 v23, v5
	buffer_wbl2
	s_waitcnt vmcnt(0)
	global_atomic_cmpswap_x2 v[22:23], v3, v[20:23], s[2:3] offset:24 glc
	s_waitcnt vmcnt(0)
	v_cmp_ne_u64_e32 vcc, v[22:23], v[4:5]
	s_and_b64 exec, exec, vcc
	s_cbranch_execz .LBB2_117
; %bb.197:                              ;   in Loop: Header=BB2_118 Depth=2
	s_mov_b64 s[0:1], 0
.LBB2_198:                              ;   Parent Loop BB2_4 Depth=1
                                        ;     Parent Loop BB2_118 Depth=2
                                        ; =>    This Inner Loop Header: Depth=3
	s_sleep 1
	global_store_dwordx2 v[0:1], v[22:23], off
	buffer_wbl2
	s_waitcnt vmcnt(0)
	global_atomic_cmpswap_x2 v[4:5], v3, v[20:23], s[2:3] offset:24 glc
	s_waitcnt vmcnt(0)
	v_cmp_eq_u64_e32 vcc, v[4:5], v[22:23]
	s_or_b64 s[0:1], vcc, s[0:1]
	v_pk_mov_b32 v[22:23], v[4:5], v[4:5] op_sel:[0,1]
	s_andn2_b64 exec, exec, s[0:1]
	s_cbranch_execnz .LBB2_198
	s_branch .LBB2_117
.LBB2_199:                              ;   in Loop: Header=BB2_4 Depth=1
	s_branch .LBB2_3
.LBB2_200:                              ;   in Loop: Header=BB2_4 Depth=1
                                        ; implicit-def: $vgpr16_vgpr17
	s_cbranch_execz .LBB2_115
; %bb.201:                              ;   in Loop: Header=BB2_4 Depth=1
	v_readfirstlane_b32 s0, v38
	v_cmp_eq_u32_e64 s[0:1], s0, v38
	v_pk_mov_b32 v[4:5], 0, 0
	s_and_saveexec_b64 s[12:13], s[0:1]
	s_cbranch_execz .LBB2_207
; %bb.202:                              ;   in Loop: Header=BB2_4 Depth=1
	global_load_dwordx2 v[18:19], v3, s[2:3] offset:24 glc
	s_waitcnt vmcnt(0)
	buffer_invl2
	buffer_wbinvl1_vol
	global_load_dwordx2 v[4:5], v3, s[2:3] offset:40
	global_load_dwordx2 v[16:17], v3, s[2:3]
	s_waitcnt vmcnt(1)
	v_and_b32_e32 v2, v4, v18
	v_and_b32_e32 v4, v5, v19
	v_mul_lo_u32 v4, v4, 24
	v_mul_hi_u32 v5, v2, 24
	v_mul_lo_u32 v2, v2, 24
	v_add_u32_e32 v5, v5, v4
	s_waitcnt vmcnt(0)
	v_add_co_u32_e32 v4, vcc, v16, v2
	v_addc_co_u32_e32 v5, vcc, v17, v5, vcc
	global_load_dwordx2 v[16:17], v[4:5], off glc
	s_waitcnt vmcnt(0)
	global_atomic_cmpswap_x2 v[4:5], v3, v[16:19], s[2:3] offset:24 glc
	s_waitcnt vmcnt(0)
	buffer_invl2
	buffer_wbinvl1_vol
	v_cmp_ne_u64_e32 vcc, v[4:5], v[18:19]
	s_and_saveexec_b64 s[14:15], vcc
	s_cbranch_execz .LBB2_206
; %bb.203:                              ;   in Loop: Header=BB2_4 Depth=1
	s_mov_b64 s[16:17], 0
.LBB2_204:                              ;   Parent Loop BB2_4 Depth=1
                                        ; =>  This Inner Loop Header: Depth=2
	s_sleep 1
	global_load_dwordx2 v[16:17], v3, s[2:3] offset:40
	global_load_dwordx2 v[20:21], v3, s[2:3]
	v_pk_mov_b32 v[18:19], v[4:5], v[4:5] op_sel:[0,1]
	s_waitcnt vmcnt(1)
	v_and_b32_e32 v2, v16, v18
	s_waitcnt vmcnt(0)
	v_mad_u64_u32 v[4:5], s[18:19], v2, 24, v[20:21]
	v_and_b32_e32 v17, v17, v19
	v_mov_b32_e32 v2, v5
	v_mad_u64_u32 v[16:17], s[18:19], v17, 24, v[2:3]
	v_mov_b32_e32 v5, v16
	global_load_dwordx2 v[16:17], v[4:5], off glc
	s_waitcnt vmcnt(0)
	global_atomic_cmpswap_x2 v[4:5], v3, v[16:19], s[2:3] offset:24 glc
	s_waitcnt vmcnt(0)
	buffer_invl2
	buffer_wbinvl1_vol
	v_cmp_eq_u64_e32 vcc, v[4:5], v[18:19]
	s_or_b64 s[16:17], vcc, s[16:17]
	s_andn2_b64 exec, exec, s[16:17]
	s_cbranch_execnz .LBB2_204
; %bb.205:                              ;   in Loop: Header=BB2_4 Depth=1
	s_or_b64 exec, exec, s[16:17]
.LBB2_206:                              ;   in Loop: Header=BB2_4 Depth=1
	s_or_b64 exec, exec, s[14:15]
.LBB2_207:                              ;   in Loop: Header=BB2_4 Depth=1
	s_or_b64 exec, exec, s[12:13]
	global_load_dwordx2 v[20:21], v3, s[2:3] offset:40
	global_load_dwordx4 v[16:19], v3, s[2:3]
	v_readfirstlane_b32 s12, v4
	v_readfirstlane_b32 s13, v5
	s_mov_b64 s[14:15], exec
	s_waitcnt vmcnt(1)
	v_readfirstlane_b32 s16, v20
	v_readfirstlane_b32 s17, v21
	s_and_b64 s[16:17], s[12:13], s[16:17]
	s_mul_i32 s18, s17, 24
	s_mul_hi_u32 s19, s16, 24
	s_mul_i32 s20, s16, 24
	s_add_i32 s18, s19, s18
	v_mov_b32_e32 v2, s18
	s_waitcnt vmcnt(0)
	v_add_co_u32_e32 v20, vcc, s20, v16
	v_addc_co_u32_e32 v21, vcc, v17, v2, vcc
	s_and_saveexec_b64 s[18:19], s[0:1]
	s_cbranch_execz .LBB2_209
; %bb.208:                              ;   in Loop: Header=BB2_4 Depth=1
	v_pk_mov_b32 v[4:5], s[14:15], s[14:15] op_sel:[0,1]
	global_store_dwordx4 v[20:21], v[4:7], off offset:8
.LBB2_209:                              ;   in Loop: Header=BB2_4 Depth=1
	s_or_b64 exec, exec, s[18:19]
	s_lshl_b64 s[14:15], s[16:17], 12
	v_mov_b32_e32 v2, s15
	v_add_co_u32_e32 v4, vcc, s14, v18
	v_addc_co_u32_e32 v5, vcc, v19, v2, vcc
	v_pk_mov_b32 v[24:25], s[6:7], s[6:7] op_sel:[0,1]
	v_and_or_b32 v0, v0, s27, 32
	v_mov_b32_e32 v2, v3
	v_readfirstlane_b32 s14, v4
	v_readfirstlane_b32 s15, v5
	v_pk_mov_b32 v[22:23], s[4:5], s[4:5] op_sel:[0,1]
	s_nop 3
	global_store_dwordx4 v39, v[0:3], s[14:15]
	global_store_dwordx4 v39, v[22:25], s[14:15] offset:16
	global_store_dwordx4 v39, v[22:25], s[14:15] offset:32
	;; [unrolled: 1-line block ×3, first 2 shown]
	s_and_saveexec_b64 s[14:15], s[0:1]
	s_cbranch_execz .LBB2_217
; %bb.210:                              ;   in Loop: Header=BB2_4 Depth=1
	global_load_dwordx2 v[24:25], v3, s[2:3] offset:32 glc
	global_load_dwordx2 v[0:1], v3, s[2:3] offset:40
	v_mov_b32_e32 v22, s12
	v_mov_b32_e32 v23, s13
	s_waitcnt vmcnt(0)
	v_readfirstlane_b32 s16, v0
	v_readfirstlane_b32 s17, v1
	s_and_b64 s[16:17], s[16:17], s[12:13]
	s_mul_i32 s17, s17, 24
	s_mul_hi_u32 s18, s16, 24
	s_mul_i32 s16, s16, 24
	s_add_i32 s17, s18, s17
	v_mov_b32_e32 v1, s17
	v_add_co_u32_e32 v0, vcc, s16, v16
	v_addc_co_u32_e32 v1, vcc, v17, v1, vcc
	global_store_dwordx2 v[0:1], v[24:25], off
	buffer_wbl2
	s_waitcnt vmcnt(0)
	global_atomic_cmpswap_x2 v[18:19], v3, v[22:25], s[2:3] offset:32 glc
	s_waitcnt vmcnt(0)
	v_cmp_ne_u64_e32 vcc, v[18:19], v[24:25]
	s_and_saveexec_b64 s[16:17], vcc
	s_cbranch_execz .LBB2_213
; %bb.211:                              ;   in Loop: Header=BB2_4 Depth=1
	s_mov_b64 s[18:19], 0
.LBB2_212:                              ;   Parent Loop BB2_4 Depth=1
                                        ; =>  This Inner Loop Header: Depth=2
	s_sleep 1
	global_store_dwordx2 v[0:1], v[18:19], off
	v_mov_b32_e32 v16, s12
	v_mov_b32_e32 v17, s13
	buffer_wbl2
	s_waitcnt vmcnt(0)
	global_atomic_cmpswap_x2 v[16:17], v3, v[16:19], s[2:3] offset:32 glc
	s_waitcnt vmcnt(0)
	v_cmp_eq_u64_e32 vcc, v[16:17], v[18:19]
	s_or_b64 s[18:19], vcc, s[18:19]
	v_pk_mov_b32 v[18:19], v[16:17], v[16:17] op_sel:[0,1]
	s_andn2_b64 exec, exec, s[18:19]
	s_cbranch_execnz .LBB2_212
.LBB2_213:                              ;   in Loop: Header=BB2_4 Depth=1
	s_or_b64 exec, exec, s[16:17]
	global_load_dwordx2 v[0:1], v3, s[2:3] offset:16
	s_mov_b64 s[18:19], exec
	v_mbcnt_lo_u32_b32 v2, s18, 0
	v_mbcnt_hi_u32_b32 v2, s19, v2
	v_cmp_eq_u32_e32 vcc, 0, v2
	s_and_saveexec_b64 s[16:17], vcc
	s_cbranch_execz .LBB2_215
; %bb.214:                              ;   in Loop: Header=BB2_4 Depth=1
	s_bcnt1_i32_b64 s18, s[18:19]
	v_mov_b32_e32 v2, s18
	buffer_wbl2
	s_waitcnt vmcnt(0)
	global_atomic_add_x2 v[0:1], v[2:3], off offset:8
.LBB2_215:                              ;   in Loop: Header=BB2_4 Depth=1
	s_or_b64 exec, exec, s[16:17]
	s_waitcnt vmcnt(0)
	global_load_dwordx2 v[16:17], v[0:1], off offset:16
	s_waitcnt vmcnt(0)
	v_cmp_eq_u64_e32 vcc, 0, v[16:17]
	s_cbranch_vccnz .LBB2_217
; %bb.216:                              ;   in Loop: Header=BB2_4 Depth=1
	global_load_dword v2, v[0:1], off offset:24
	s_waitcnt vmcnt(0)
	v_and_b32_e32 v0, 0xffffff, v2
	v_readfirstlane_b32 m0, v0
	buffer_wbl2
	global_store_dwordx2 v[16:17], v[2:3], off
	s_sendmsg sendmsg(MSG_INTERRUPT)
.LBB2_217:                              ;   in Loop: Header=BB2_4 Depth=1
	s_or_b64 exec, exec, s[14:15]
	v_add_co_u32_e32 v0, vcc, v4, v39
	v_addc_co_u32_e32 v1, vcc, 0, v5, vcc
	s_branch .LBB2_221
.LBB2_218:                              ;   in Loop: Header=BB2_221 Depth=2
	s_or_b64 exec, exec, s[14:15]
	v_readfirstlane_b32 s14, v2
	s_cmp_eq_u32 s14, 0
	s_cbranch_scc1 .LBB2_220
; %bb.219:                              ;   in Loop: Header=BB2_221 Depth=2
	s_sleep 1
	s_cbranch_execnz .LBB2_221
	s_branch .LBB2_223
.LBB2_220:                              ;   in Loop: Header=BB2_4 Depth=1
	s_branch .LBB2_223
.LBB2_221:                              ;   Parent Loop BB2_4 Depth=1
                                        ; =>  This Inner Loop Header: Depth=2
	v_mov_b32_e32 v2, 1
	s_and_saveexec_b64 s[14:15], s[0:1]
	s_cbranch_execz .LBB2_218
; %bb.222:                              ;   in Loop: Header=BB2_221 Depth=2
	global_load_dword v2, v[20:21], off offset:20 glc
	s_waitcnt vmcnt(0)
	buffer_invl2
	buffer_wbinvl1_vol
	v_and_b32_e32 v2, 1, v2
	s_branch .LBB2_218
.LBB2_223:                              ;   in Loop: Header=BB2_4 Depth=1
	global_load_dwordx2 v[16:17], v[0:1], off
	s_and_saveexec_b64 s[14:15], s[0:1]
	s_cbranch_execz .LBB2_227
; %bb.224:                              ;   in Loop: Header=BB2_4 Depth=1
	global_load_dwordx2 v[0:1], v3, s[2:3] offset:40
	global_load_dwordx2 v[4:5], v3, s[2:3] offset:24 glc
	global_load_dwordx2 v[22:23], v3, s[2:3]
	v_mov_b32_e32 v2, s13
	s_waitcnt vmcnt(2)
	v_add_co_u32_e32 v21, vcc, 1, v0
	v_addc_co_u32_e32 v24, vcc, 0, v1, vcc
	v_add_co_u32_e32 v18, vcc, s12, v21
	v_addc_co_u32_e32 v19, vcc, v24, v2, vcc
	v_cmp_eq_u64_e32 vcc, 0, v[18:19]
	v_cndmask_b32_e32 v19, v19, v24, vcc
	v_cndmask_b32_e32 v18, v18, v21, vcc
	v_and_b32_e32 v1, v19, v1
	v_and_b32_e32 v0, v18, v0
	v_mul_lo_u32 v1, v1, 24
	v_mul_hi_u32 v2, v0, 24
	v_mul_lo_u32 v0, v0, 24
	v_add_u32_e32 v1, v2, v1
	s_waitcnt vmcnt(0)
	v_add_co_u32_e32 v0, vcc, v22, v0
	v_addc_co_u32_e32 v1, vcc, v23, v1, vcc
	v_mov_b32_e32 v20, v4
	global_store_dwordx2 v[0:1], v[4:5], off
	v_mov_b32_e32 v21, v5
	buffer_wbl2
	s_waitcnt vmcnt(0)
	global_atomic_cmpswap_x2 v[20:21], v3, v[18:21], s[2:3] offset:24 glc
	s_waitcnt vmcnt(0)
	v_cmp_ne_u64_e32 vcc, v[20:21], v[4:5]
	s_and_b64 exec, exec, vcc
	s_cbranch_execz .LBB2_227
; %bb.225:                              ;   in Loop: Header=BB2_4 Depth=1
	s_mov_b64 s[0:1], 0
.LBB2_226:                              ;   Parent Loop BB2_4 Depth=1
                                        ; =>  This Inner Loop Header: Depth=2
	s_sleep 1
	global_store_dwordx2 v[0:1], v[20:21], off
	buffer_wbl2
	s_waitcnt vmcnt(0)
	global_atomic_cmpswap_x2 v[4:5], v3, v[18:21], s[2:3] offset:24 glc
	s_waitcnt vmcnt(0)
	v_cmp_eq_u64_e32 vcc, v[4:5], v[20:21]
	s_or_b64 s[0:1], vcc, s[0:1]
	v_pk_mov_b32 v[20:21], v[4:5], v[4:5] op_sel:[0,1]
	s_andn2_b64 exec, exec, s[0:1]
	s_cbranch_execnz .LBB2_226
.LBB2_227:                              ;   in Loop: Header=BB2_4 Depth=1
	s_or_b64 exec, exec, s[14:15]
	s_and_b64 vcc, exec, s[10:11]
	s_cbranch_vccnz .LBB2_116
.LBB2_228:                              ;   in Loop: Header=BB2_4 Depth=1
	s_cbranch_execz .LBB2_3
; %bb.229:                              ;   in Loop: Header=BB2_4 Depth=1
	v_readfirstlane_b32 s0, v38
	v_cmp_eq_u32_e64 s[0:1], s0, v38
	s_waitcnt vmcnt(0)
	v_pk_mov_b32 v[0:1], 0, 0
	s_and_saveexec_b64 s[12:13], s[0:1]
	s_cbranch_execz .LBB2_235
; %bb.230:                              ;   in Loop: Header=BB2_4 Depth=1
	global_load_dwordx2 v[20:21], v3, s[2:3] offset:24 glc
	s_waitcnt vmcnt(0)
	buffer_invl2
	buffer_wbinvl1_vol
	global_load_dwordx2 v[0:1], v3, s[2:3] offset:40
	global_load_dwordx2 v[4:5], v3, s[2:3]
	s_waitcnt vmcnt(1)
	v_and_b32_e32 v0, v0, v20
	v_and_b32_e32 v1, v1, v21
	v_mul_lo_u32 v1, v1, 24
	v_mul_hi_u32 v2, v0, 24
	v_mul_lo_u32 v0, v0, 24
	v_add_u32_e32 v1, v2, v1
	s_waitcnt vmcnt(0)
	v_add_co_u32_e32 v0, vcc, v4, v0
	v_addc_co_u32_e32 v1, vcc, v5, v1, vcc
	global_load_dwordx2 v[18:19], v[0:1], off glc
	s_waitcnt vmcnt(0)
	global_atomic_cmpswap_x2 v[0:1], v3, v[18:21], s[2:3] offset:24 glc
	s_waitcnt vmcnt(0)
	buffer_invl2
	buffer_wbinvl1_vol
	v_cmp_ne_u64_e32 vcc, v[0:1], v[20:21]
	s_and_saveexec_b64 s[14:15], vcc
	s_cbranch_execz .LBB2_234
; %bb.231:                              ;   in Loop: Header=BB2_4 Depth=1
	s_mov_b64 s[16:17], 0
.LBB2_232:                              ;   Parent Loop BB2_4 Depth=1
                                        ; =>  This Inner Loop Header: Depth=2
	s_sleep 1
	global_load_dwordx2 v[4:5], v3, s[2:3] offset:40
	global_load_dwordx2 v[18:19], v3, s[2:3]
	v_pk_mov_b32 v[20:21], v[0:1], v[0:1] op_sel:[0,1]
	s_waitcnt vmcnt(1)
	v_and_b32_e32 v0, v4, v20
	s_waitcnt vmcnt(0)
	v_mad_u64_u32 v[0:1], s[18:19], v0, 24, v[18:19]
	v_and_b32_e32 v5, v5, v21
	v_mov_b32_e32 v2, v1
	v_mad_u64_u32 v[4:5], s[18:19], v5, 24, v[2:3]
	v_mov_b32_e32 v1, v4
	global_load_dwordx2 v[18:19], v[0:1], off glc
	s_waitcnt vmcnt(0)
	global_atomic_cmpswap_x2 v[0:1], v3, v[18:21], s[2:3] offset:24 glc
	s_waitcnt vmcnt(0)
	buffer_invl2
	buffer_wbinvl1_vol
	v_cmp_eq_u64_e32 vcc, v[0:1], v[20:21]
	s_or_b64 s[16:17], vcc, s[16:17]
	s_andn2_b64 exec, exec, s[16:17]
	s_cbranch_execnz .LBB2_232
; %bb.233:                              ;   in Loop: Header=BB2_4 Depth=1
	s_or_b64 exec, exec, s[16:17]
.LBB2_234:                              ;   in Loop: Header=BB2_4 Depth=1
	s_or_b64 exec, exec, s[14:15]
.LBB2_235:                              ;   in Loop: Header=BB2_4 Depth=1
	s_or_b64 exec, exec, s[12:13]
	global_load_dwordx2 v[4:5], v3, s[2:3] offset:40
	global_load_dwordx4 v[20:23], v3, s[2:3]
	v_readfirstlane_b32 s12, v0
	v_readfirstlane_b32 s13, v1
	s_mov_b64 s[14:15], exec
	s_waitcnt vmcnt(1)
	v_readfirstlane_b32 s16, v4
	v_readfirstlane_b32 s17, v5
	s_and_b64 s[16:17], s[12:13], s[16:17]
	s_mul_i32 s18, s17, 24
	s_mul_hi_u32 s19, s16, 24
	s_mul_i32 s20, s16, 24
	s_add_i32 s18, s19, s18
	v_mov_b32_e32 v1, s18
	s_waitcnt vmcnt(0)
	v_add_co_u32_e32 v0, vcc, s20, v20
	v_addc_co_u32_e32 v1, vcc, v21, v1, vcc
	s_and_saveexec_b64 s[18:19], s[0:1]
	s_cbranch_execz .LBB2_237
; %bb.236:                              ;   in Loop: Header=BB2_4 Depth=1
	v_pk_mov_b32 v[4:5], s[14:15], s[14:15] op_sel:[0,1]
	global_store_dwordx4 v[0:1], v[4:7], off offset:8
.LBB2_237:                              ;   in Loop: Header=BB2_4 Depth=1
	s_or_b64 exec, exec, s[18:19]
	s_lshl_b64 s[14:15], s[16:17], 12
	v_mov_b32_e32 v4, s15
	v_add_co_u32_e32 v2, vcc, s14, v22
	v_addc_co_u32_e32 v5, vcc, v23, v4, vcc
	v_and_or_b32 v16, v16, s28, 34
	v_mov_b32_e32 v18, v3
	v_mov_b32_e32 v19, v3
	v_readfirstlane_b32 s14, v2
	v_readfirstlane_b32 s15, v5
	s_nop 4
	global_store_dwordx4 v39, v[16:19], s[14:15]
	s_nop 0
	v_pk_mov_b32 v[18:19], s[6:7], s[6:7] op_sel:[0,1]
	v_pk_mov_b32 v[16:17], s[4:5], s[4:5] op_sel:[0,1]
	global_store_dwordx4 v39, v[16:19], s[14:15] offset:16
	global_store_dwordx4 v39, v[16:19], s[14:15] offset:32
	;; [unrolled: 1-line block ×3, first 2 shown]
	s_and_saveexec_b64 s[14:15], s[0:1]
	s_cbranch_execz .LBB2_245
; %bb.238:                              ;   in Loop: Header=BB2_4 Depth=1
	global_load_dwordx2 v[24:25], v3, s[2:3] offset:32 glc
	global_load_dwordx2 v[4:5], v3, s[2:3] offset:40
	v_mov_b32_e32 v22, s12
	v_mov_b32_e32 v23, s13
	s_waitcnt vmcnt(0)
	v_readfirstlane_b32 s16, v4
	v_readfirstlane_b32 s17, v5
	s_and_b64 s[16:17], s[16:17], s[12:13]
	s_mul_i32 s17, s17, 24
	s_mul_hi_u32 s18, s16, 24
	s_mul_i32 s16, s16, 24
	s_add_i32 s17, s18, s17
	v_mov_b32_e32 v2, s17
	v_add_co_u32_e32 v4, vcc, s16, v20
	v_addc_co_u32_e32 v5, vcc, v21, v2, vcc
	global_store_dwordx2 v[4:5], v[24:25], off
	buffer_wbl2
	s_waitcnt vmcnt(0)
	global_atomic_cmpswap_x2 v[18:19], v3, v[22:25], s[2:3] offset:32 glc
	s_waitcnt vmcnt(0)
	v_cmp_ne_u64_e32 vcc, v[18:19], v[24:25]
	s_and_saveexec_b64 s[16:17], vcc
	s_cbranch_execz .LBB2_241
; %bb.239:                              ;   in Loop: Header=BB2_4 Depth=1
	s_mov_b64 s[18:19], 0
.LBB2_240:                              ;   Parent Loop BB2_4 Depth=1
                                        ; =>  This Inner Loop Header: Depth=2
	s_sleep 1
	global_store_dwordx2 v[4:5], v[18:19], off
	v_mov_b32_e32 v16, s12
	v_mov_b32_e32 v17, s13
	buffer_wbl2
	s_waitcnt vmcnt(0)
	global_atomic_cmpswap_x2 v[16:17], v3, v[16:19], s[2:3] offset:32 glc
	s_waitcnt vmcnt(0)
	v_cmp_eq_u64_e32 vcc, v[16:17], v[18:19]
	s_or_b64 s[18:19], vcc, s[18:19]
	v_pk_mov_b32 v[18:19], v[16:17], v[16:17] op_sel:[0,1]
	s_andn2_b64 exec, exec, s[18:19]
	s_cbranch_execnz .LBB2_240
.LBB2_241:                              ;   in Loop: Header=BB2_4 Depth=1
	s_or_b64 exec, exec, s[16:17]
	global_load_dwordx2 v[4:5], v3, s[2:3] offset:16
	s_mov_b64 s[18:19], exec
	v_mbcnt_lo_u32_b32 v2, s18, 0
	v_mbcnt_hi_u32_b32 v2, s19, v2
	v_cmp_eq_u32_e32 vcc, 0, v2
	s_and_saveexec_b64 s[16:17], vcc
	s_cbranch_execz .LBB2_243
; %bb.242:                              ;   in Loop: Header=BB2_4 Depth=1
	s_bcnt1_i32_b64 s18, s[18:19]
	v_mov_b32_e32 v2, s18
	buffer_wbl2
	s_waitcnt vmcnt(0)
	global_atomic_add_x2 v[4:5], v[2:3], off offset:8
.LBB2_243:                              ;   in Loop: Header=BB2_4 Depth=1
	s_or_b64 exec, exec, s[16:17]
	s_waitcnt vmcnt(0)
	global_load_dwordx2 v[16:17], v[4:5], off offset:16
	s_waitcnt vmcnt(0)
	v_cmp_eq_u64_e32 vcc, 0, v[16:17]
	s_cbranch_vccnz .LBB2_245
; %bb.244:                              ;   in Loop: Header=BB2_4 Depth=1
	global_load_dword v2, v[4:5], off offset:24
	buffer_wbl2
	s_waitcnt vmcnt(0)
	global_store_dwordx2 v[16:17], v[2:3], off
	v_and_b32_e32 v2, 0xffffff, v2
	v_readfirstlane_b32 m0, v2
	s_sendmsg sendmsg(MSG_INTERRUPT)
.LBB2_245:                              ;   in Loop: Header=BB2_4 Depth=1
	s_or_b64 exec, exec, s[14:15]
	s_branch .LBB2_249
.LBB2_246:                              ;   in Loop: Header=BB2_249 Depth=2
	s_or_b64 exec, exec, s[14:15]
	v_readfirstlane_b32 s14, v2
	s_cmp_eq_u32 s14, 0
	s_cbranch_scc1 .LBB2_248
; %bb.247:                              ;   in Loop: Header=BB2_249 Depth=2
	s_sleep 1
	s_cbranch_execnz .LBB2_249
	s_branch .LBB2_251
.LBB2_248:                              ;   in Loop: Header=BB2_4 Depth=1
	s_branch .LBB2_251
.LBB2_249:                              ;   Parent Loop BB2_4 Depth=1
                                        ; =>  This Inner Loop Header: Depth=2
	v_mov_b32_e32 v2, 1
	s_and_saveexec_b64 s[14:15], s[0:1]
	s_cbranch_execz .LBB2_246
; %bb.250:                              ;   in Loop: Header=BB2_249 Depth=2
	global_load_dword v2, v[0:1], off offset:20 glc
	s_waitcnt vmcnt(0)
	buffer_invl2
	buffer_wbinvl1_vol
	v_and_b32_e32 v2, 1, v2
	s_branch .LBB2_246
.LBB2_251:                              ;   in Loop: Header=BB2_4 Depth=1
	s_and_saveexec_b64 s[14:15], s[0:1]
	s_cbranch_execz .LBB2_2
; %bb.252:                              ;   in Loop: Header=BB2_4 Depth=1
	global_load_dwordx2 v[0:1], v3, s[2:3] offset:40
	global_load_dwordx2 v[4:5], v3, s[2:3] offset:24 glc
	global_load_dwordx2 v[20:21], v3, s[2:3]
	v_mov_b32_e32 v2, s13
	s_waitcnt vmcnt(2)
	v_add_co_u32_e32 v19, vcc, 1, v0
	v_addc_co_u32_e32 v22, vcc, 0, v1, vcc
	v_add_co_u32_e32 v16, vcc, s12, v19
	v_addc_co_u32_e32 v17, vcc, v22, v2, vcc
	v_cmp_eq_u64_e32 vcc, 0, v[16:17]
	v_cndmask_b32_e32 v17, v17, v22, vcc
	v_cndmask_b32_e32 v16, v16, v19, vcc
	v_and_b32_e32 v1, v17, v1
	v_and_b32_e32 v0, v16, v0
	v_mul_lo_u32 v1, v1, 24
	v_mul_hi_u32 v2, v0, 24
	v_mul_lo_u32 v0, v0, 24
	v_add_u32_e32 v1, v2, v1
	s_waitcnt vmcnt(0)
	v_add_co_u32_e32 v0, vcc, v20, v0
	v_addc_co_u32_e32 v1, vcc, v21, v1, vcc
	v_mov_b32_e32 v18, v4
	global_store_dwordx2 v[0:1], v[4:5], off
	v_mov_b32_e32 v19, v5
	buffer_wbl2
	s_waitcnt vmcnt(0)
	global_atomic_cmpswap_x2 v[18:19], v3, v[16:19], s[2:3] offset:24 glc
	s_waitcnt vmcnt(0)
	v_cmp_ne_u64_e32 vcc, v[18:19], v[4:5]
	s_and_b64 exec, exec, vcc
	s_cbranch_execz .LBB2_2
; %bb.253:                              ;   in Loop: Header=BB2_4 Depth=1
	s_mov_b64 s[0:1], 0
.LBB2_254:                              ;   Parent Loop BB2_4 Depth=1
                                        ; =>  This Inner Loop Header: Depth=2
	s_sleep 1
	global_store_dwordx2 v[0:1], v[18:19], off
	buffer_wbl2
	s_waitcnt vmcnt(0)
	global_atomic_cmpswap_x2 v[4:5], v3, v[16:19], s[2:3] offset:24 glc
	s_waitcnt vmcnt(0)
	v_cmp_eq_u64_e32 vcc, v[4:5], v[18:19]
	s_or_b64 s[0:1], vcc, s[0:1]
	v_pk_mov_b32 v[18:19], v[4:5], v[4:5] op_sel:[0,1]
	s_andn2_b64 exec, exec, s[0:1]
	s_cbranch_execnz .LBB2_254
	s_branch .LBB2_2
.LBB2_255:
	s_endpgm
	.section	.rodata,"a",@progbits
	.p2align	6, 0x0
	.amdhsa_kernel _ZN19hipPrintfStressTest35kernel_printf_single_conditionalstrEj
		.amdhsa_group_segment_fixed_size 0
		.amdhsa_private_segment_fixed_size 0
		.amdhsa_kernarg_size 264
		.amdhsa_user_sgpr_count 6
		.amdhsa_user_sgpr_private_segment_buffer 1
		.amdhsa_user_sgpr_dispatch_ptr 0
		.amdhsa_user_sgpr_queue_ptr 0
		.amdhsa_user_sgpr_kernarg_segment_ptr 1
		.amdhsa_user_sgpr_dispatch_id 0
		.amdhsa_user_sgpr_flat_scratch_init 0
		.amdhsa_user_sgpr_kernarg_preload_length 0
		.amdhsa_user_sgpr_kernarg_preload_offset 0
		.amdhsa_user_sgpr_private_segment_size 0
		.amdhsa_uses_dynamic_stack 0
		.amdhsa_system_sgpr_private_segment_wavefront_offset 0
		.amdhsa_system_sgpr_workgroup_id_x 1
		.amdhsa_system_sgpr_workgroup_id_y 0
		.amdhsa_system_sgpr_workgroup_id_z 0
		.amdhsa_system_sgpr_workgroup_info 0
		.amdhsa_system_vgpr_workitem_id 0
		.amdhsa_next_free_vgpr 42
		.amdhsa_next_free_sgpr 31
		.amdhsa_accum_offset 44
		.amdhsa_reserve_vcc 1
		.amdhsa_reserve_flat_scratch 0
		.amdhsa_float_round_mode_32 0
		.amdhsa_float_round_mode_16_64 0
		.amdhsa_float_denorm_mode_32 3
		.amdhsa_float_denorm_mode_16_64 3
		.amdhsa_dx10_clamp 1
		.amdhsa_ieee_mode 1
		.amdhsa_fp16_overflow 0
		.amdhsa_tg_split 0
		.amdhsa_exception_fp_ieee_invalid_op 0
		.amdhsa_exception_fp_denorm_src 0
		.amdhsa_exception_fp_ieee_div_zero 0
		.amdhsa_exception_fp_ieee_overflow 0
		.amdhsa_exception_fp_ieee_underflow 0
		.amdhsa_exception_fp_ieee_inexact 0
		.amdhsa_exception_int_div_zero 0
	.end_amdhsa_kernel
	.text
.Lfunc_end2:
	.size	_ZN19hipPrintfStressTest35kernel_printf_single_conditionalstrEj, .Lfunc_end2-_ZN19hipPrintfStressTest35kernel_printf_single_conditionalstrEj
                                        ; -- End function
	.section	.AMDGPU.csdata,"",@progbits
; Kernel info:
; codeLenInByte = 8416
; NumSgprs: 35
; NumVgprs: 42
; NumAgprs: 0
; TotalNumVgprs: 42
; ScratchSize: 0
; MemoryBound: 0
; FloatMode: 240
; IeeeMode: 1
; LDSByteSize: 0 bytes/workgroup (compile time only)
; SGPRBlocks: 4
; VGPRBlocks: 5
; NumSGPRsForWavesPerEU: 35
; NumVGPRsForWavesPerEU: 42
; AccumOffset: 44
; Occupancy: 8
; WaveLimiterHint : 1
; COMPUTE_PGM_RSRC2:SCRATCH_EN: 0
; COMPUTE_PGM_RSRC2:USER_SGPR: 6
; COMPUTE_PGM_RSRC2:TRAP_HANDLER: 0
; COMPUTE_PGM_RSRC2:TGID_X_EN: 1
; COMPUTE_PGM_RSRC2:TGID_Y_EN: 0
; COMPUTE_PGM_RSRC2:TGID_Z_EN: 0
; COMPUTE_PGM_RSRC2:TIDIG_COMP_CNT: 0
; COMPUTE_PGM_RSRC3_GFX90A:ACCUM_OFFSET: 10
; COMPUTE_PGM_RSRC3_GFX90A:TG_SPLIT: 0
	.text
	.protected	_ZN19hipPrintfStressTest25kernel_printf_variablestrEjPi ; -- Begin function _ZN19hipPrintfStressTest25kernel_printf_variablestrEjPi
	.globl	_ZN19hipPrintfStressTest25kernel_printf_variablestrEjPi
	.p2align	8
	.type	_ZN19hipPrintfStressTest25kernel_printf_variablestrEjPi,@function
_ZN19hipPrintfStressTest25kernel_printf_variablestrEjPi: ; @_ZN19hipPrintfStressTest25kernel_printf_variablestrEjPi
; %bb.0:
	s_load_dword s2, s[4:5], 0x1c
	s_load_dword s28, s[4:5], 0x0
	s_add_u32 s0, s4, 16
	s_addc_u32 s1, s5, 0
	s_waitcnt lgkmcnt(0)
	s_and_b32 s2, s2, 0xffff
	s_mul_i32 s6, s6, s2
	v_add_u32_e32 v30, s6, v0
	s_cmp_gt_i32 s28, 0
	s_mov_b32 s6, 0
	s_cbranch_scc1 .LBB3_2
; %bb.1:
	v_mov_b32_e32 v31, 0
	v_mov_b32_e32 v33, s6
	s_cbranch_execz .LBB3_3
	s_branch .LBB3_1221
.LBB3_2:
                                        ; implicit-def: $sgpr6
	v_mov_b32_e32 v33, s6
.LBB3_3:
	s_load_dwordx2 s[2:3], s[0:1], 0x50
	s_getpc_b64 s[0:1]
	s_add_u32 s0, s0, .str.5@rel32@lo+4
	s_addc_u32 s1, s1, .str.5@rel32@hi+12
	s_cmp_lg_u64 s[0:1], 0
	v_mbcnt_lo_u32_b32 v0, -1, 0
	s_cselect_b64 s[6:7], -1, 0
	s_getpc_b64 s[0:1]
	s_add_u32 s0, s0, .str.4@rel32@lo+4
	s_addc_u32 s1, s1, .str.4@rel32@hi+12
	s_mov_b32 s8, 0
	v_mov_b32_e32 v3, 0
	v_mbcnt_hi_u32_b32 v32, -1, v0
	v_mov_b32_e32 v35, 0
	s_cmp_lg_u64 s[0:1], 0
	s_cselect_b64 s[12:13], -1, 0
	v_mov_b32_e32 v31, v35
	s_mov_b32 s9, s8
	s_mov_b32 s10, s8
	;; [unrolled: 1-line block ×3, first 2 shown]
	s_movk_i32 s29, 0xff1f
	s_movk_i32 s30, 0xff1d
	v_mov_b32_e32 v6, 2
	v_mov_b32_e32 v7, 1
	v_lshlrev_b32_e32 v46, 6, v32
	v_mov_b32_e32 v0, 33
	s_mov_b32 s31, s8
	v_mov_b32_e32 v33, v3
	s_branch .LBB3_5
.LBB3_4:                                ;   in Loop: Header=BB3_5 Depth=1
	s_or_b64 exec, exec, s[16:17]
	v_add3_u32 v1, v33, v36, v38
	s_add_i32 s31, s31, 1
	s_cmp_eq_u32 s31, s28
	s_waitcnt vmcnt(0)
	v_add3_u32 v33, v1, v40, v4
	s_cbranch_scc1 .LBB3_1221
.LBB3_5:                                ; =>This Loop Header: Depth=1
                                        ;     Child Loop BB3_8 Depth 2
                                        ;     Child Loop BB3_16 Depth 2
                                        ;     Child Loop BB3_25 Depth 2
                                        ;     Child Loop BB3_30 Depth 2
                                        ;     Child Loop BB3_205 Depth 2
                                        ;     Child Loop BB3_213 Depth 2
                                        ;     Child Loop BB3_222 Depth 2
                                        ;     Child Loop BB3_227 Depth 2
                                        ;     Child Loop BB3_34 Depth 2
                                        ;       Child Loop BB3_37 Depth 3
                                        ;       Child Loop BB3_44 Depth 3
                                        ;       Child Loop BB3_52 Depth 3
                                        ;       Child Loop BB3_60 Depth 3
                                        ;       Child Loop BB3_68 Depth 3
                                        ;       Child Loop BB3_76 Depth 3
                                        ;       Child Loop BB3_84 Depth 3
                                        ;       Child Loop BB3_92 Depth 3
                                        ;       Child Loop BB3_100 Depth 3
                                        ;       Child Loop BB3_109 Depth 3
                                        ;       Child Loop BB3_114 Depth 3
                                        ;     Child Loop BB3_233 Depth 2
                                        ;     Child Loop BB3_241 Depth 2
                                        ;     Child Loop BB3_250 Depth 2
                                        ;     Child Loop BB3_255 Depth 2
                                        ;     Child Loop BB3_119 Depth 2
                                        ;       Child Loop BB3_122 Depth 3
                                        ;       Child Loop BB3_129 Depth 3
                                        ;       Child Loop BB3_137 Depth 3
                                        ;       Child Loop BB3_145 Depth 3
                                        ;       Child Loop BB3_153 Depth 3
                                        ;       Child Loop BB3_161 Depth 3
                                        ;       Child Loop BB3_169 Depth 3
                                        ;       Child Loop BB3_177 Depth 3
                                        ;       Child Loop BB3_185 Depth 3
                                        ;       Child Loop BB3_194 Depth 3
                                        ;       Child Loop BB3_199 Depth 3
                                        ;     Child Loop BB3_260 Depth 2
                                        ;     Child Loop BB3_268 Depth 2
                                        ;     Child Loop BB3_277 Depth 2
                                        ;     Child Loop BB3_282 Depth 2
                                        ;     Child Loop BB3_286 Depth 2
                                        ;     Child Loop BB3_294 Depth 2
                                        ;     Child Loop BB3_303 Depth 2
                                        ;     Child Loop BB3_308 Depth 2
                                        ;     Child Loop BB3_312 Depth 2
                                        ;     Child Loop BB3_320 Depth 2
                                        ;     Child Loop BB3_329 Depth 2
                                        ;     Child Loop BB3_334 Depth 2
                                        ;     Child Loop BB3_509 Depth 2
                                        ;     Child Loop BB3_517 Depth 2
                                        ;     Child Loop BB3_526 Depth 2
                                        ;     Child Loop BB3_531 Depth 2
                                        ;     Child Loop BB3_338 Depth 2
                                        ;       Child Loop BB3_341 Depth 3
                                        ;       Child Loop BB3_348 Depth 3
                                        ;       Child Loop BB3_356 Depth 3
                                        ;       Child Loop BB3_364 Depth 3
                                        ;       Child Loop BB3_372 Depth 3
                                        ;       Child Loop BB3_380 Depth 3
                                        ;       Child Loop BB3_388 Depth 3
                                        ;       Child Loop BB3_396 Depth 3
                                        ;       Child Loop BB3_404 Depth 3
                                        ;       Child Loop BB3_413 Depth 3
                                        ;       Child Loop BB3_418 Depth 3
                                        ;     Child Loop BB3_537 Depth 2
                                        ;     Child Loop BB3_545 Depth 2
                                        ;     Child Loop BB3_554 Depth 2
                                        ;     Child Loop BB3_559 Depth 2
                                        ;     Child Loop BB3_423 Depth 2
                                        ;       Child Loop BB3_426 Depth 3
                                        ;       Child Loop BB3_433 Depth 3
                                        ;       Child Loop BB3_441 Depth 3
                                        ;       Child Loop BB3_449 Depth 3
                                        ;       Child Loop BB3_457 Depth 3
                                        ;       Child Loop BB3_465 Depth 3
                                        ;       Child Loop BB3_473 Depth 3
                                        ;       Child Loop BB3_481 Depth 3
                                        ;       Child Loop BB3_489 Depth 3
                                        ;       Child Loop BB3_498 Depth 3
                                        ;       Child Loop BB3_503 Depth 3
                                        ;     Child Loop BB3_564 Depth 2
                                        ;     Child Loop BB3_572 Depth 2
                                        ;     Child Loop BB3_581 Depth 2
                                        ;     Child Loop BB3_586 Depth 2
                                        ;     Child Loop BB3_590 Depth 2
                                        ;     Child Loop BB3_598 Depth 2
                                        ;     Child Loop BB3_607 Depth 2
                                        ;     Child Loop BB3_612 Depth 2
	;; [unrolled: 44-line block ×4, first 2 shown]
	v_readfirstlane_b32 s0, v32
	v_cmp_eq_u32_e64 s[0:1], s0, v32
	v_pk_mov_b32 v[4:5], 0, 0
	s_and_saveexec_b64 s[14:15], s[0:1]
	s_cbranch_execz .LBB3_11
; %bb.6:                                ;   in Loop: Header=BB3_5 Depth=1
	s_waitcnt lgkmcnt(0)
	global_load_dwordx2 v[10:11], v35, s[2:3] offset:24 glc
	s_waitcnt vmcnt(0)
	buffer_invl2
	buffer_wbinvl1_vol
	global_load_dwordx2 v[4:5], v35, s[2:3] offset:40
	global_load_dwordx2 v[8:9], v35, s[2:3]
	s_waitcnt vmcnt(1)
	v_and_b32_e32 v1, v4, v10
	v_and_b32_e32 v2, v5, v11
	v_mul_lo_u32 v2, v2, 24
	v_mul_hi_u32 v4, v1, 24
	v_mul_lo_u32 v1, v1, 24
	v_add_u32_e32 v2, v4, v2
	s_waitcnt vmcnt(0)
	v_add_co_u32_e32 v4, vcc, v8, v1
	v_addc_co_u32_e32 v5, vcc, v9, v2, vcc
	global_load_dwordx2 v[8:9], v[4:5], off glc
	s_waitcnt vmcnt(0)
	global_atomic_cmpswap_x2 v[4:5], v35, v[8:11], s[2:3] offset:24 glc
	s_waitcnt vmcnt(0)
	buffer_invl2
	buffer_wbinvl1_vol
	v_cmp_ne_u64_e32 vcc, v[4:5], v[10:11]
	s_and_saveexec_b64 s[16:17], vcc
	s_cbranch_execz .LBB3_10
; %bb.7:                                ;   in Loop: Header=BB3_5 Depth=1
	s_mov_b64 s[18:19], 0
.LBB3_8:                                ;   Parent Loop BB3_5 Depth=1
                                        ; =>  This Inner Loop Header: Depth=2
	s_sleep 1
	global_load_dwordx2 v[8:9], v35, s[2:3] offset:40
	global_load_dwordx2 v[12:13], v35, s[2:3]
	v_pk_mov_b32 v[10:11], v[4:5], v[4:5] op_sel:[0,1]
	s_waitcnt vmcnt(1)
	v_and_b32_e32 v2, v8, v10
	s_waitcnt vmcnt(0)
	v_mad_u64_u32 v[4:5], s[20:21], v2, 24, v[12:13]
	v_and_b32_e32 v1, v9, v11
	v_mov_b32_e32 v2, v5
	v_mad_u64_u32 v[8:9], s[20:21], v1, 24, v[2:3]
	v_mov_b32_e32 v5, v8
	global_load_dwordx2 v[8:9], v[4:5], off glc
	s_waitcnt vmcnt(0)
	global_atomic_cmpswap_x2 v[4:5], v35, v[8:11], s[2:3] offset:24 glc
	s_waitcnt vmcnt(0)
	buffer_invl2
	buffer_wbinvl1_vol
	v_cmp_eq_u64_e32 vcc, v[4:5], v[10:11]
	s_or_b64 s[18:19], vcc, s[18:19]
	s_andn2_b64 exec, exec, s[18:19]
	s_cbranch_execnz .LBB3_8
; %bb.9:                                ;   in Loop: Header=BB3_5 Depth=1
	s_or_b64 exec, exec, s[18:19]
.LBB3_10:                               ;   in Loop: Header=BB3_5 Depth=1
	s_or_b64 exec, exec, s[16:17]
.LBB3_11:                               ;   in Loop: Header=BB3_5 Depth=1
	s_or_b64 exec, exec, s[14:15]
	s_waitcnt lgkmcnt(0)
	global_load_dwordx2 v[12:13], v35, s[2:3] offset:40
	global_load_dwordx4 v[8:11], v35, s[2:3]
	v_readfirstlane_b32 s14, v4
	v_readfirstlane_b32 s15, v5
	s_mov_b64 s[16:17], exec
	s_waitcnt vmcnt(1)
	v_readfirstlane_b32 s18, v12
	v_readfirstlane_b32 s19, v13
	s_and_b64 s[18:19], s[14:15], s[18:19]
	s_mul_i32 s20, s19, 24
	s_mul_hi_u32 s21, s18, 24
	s_mul_i32 s22, s18, 24
	s_add_i32 s20, s21, s20
	v_mov_b32_e32 v1, s20
	s_waitcnt vmcnt(0)
	v_add_co_u32_e32 v12, vcc, s22, v8
	v_addc_co_u32_e32 v13, vcc, v9, v1, vcc
	s_and_saveexec_b64 s[20:21], s[0:1]
	s_cbranch_execz .LBB3_13
; %bb.12:                               ;   in Loop: Header=BB3_5 Depth=1
	v_pk_mov_b32 v[4:5], s[16:17], s[16:17] op_sel:[0,1]
	global_store_dwordx4 v[12:13], v[4:7], off offset:8
.LBB3_13:                               ;   in Loop: Header=BB3_5 Depth=1
	s_or_b64 exec, exec, s[20:21]
	s_lshl_b64 s[16:17], s[18:19], 12
	v_mov_b32_e32 v1, s17
	v_add_co_u32_e32 v4, vcc, s16, v10
	v_addc_co_u32_e32 v5, vcc, v11, v1, vcc
	v_pk_mov_b32 v[16:17], s[10:11], s[10:11] op_sel:[0,1]
	v_mov_b32_e32 v1, v3
	v_mov_b32_e32 v2, v3
	v_readfirstlane_b32 s16, v4
	v_readfirstlane_b32 s17, v5
	v_pk_mov_b32 v[14:15], s[8:9], s[8:9] op_sel:[0,1]
	s_nop 3
	global_store_dwordx4 v46, v[0:3], s[16:17]
	global_store_dwordx4 v46, v[14:17], s[16:17] offset:16
	global_store_dwordx4 v46, v[14:17], s[16:17] offset:32
	;; [unrolled: 1-line block ×3, first 2 shown]
	s_and_saveexec_b64 s[16:17], s[0:1]
	s_cbranch_execz .LBB3_21
; %bb.14:                               ;   in Loop: Header=BB3_5 Depth=1
	global_load_dwordx2 v[18:19], v35, s[2:3] offset:32 glc
	global_load_dwordx2 v[10:11], v35, s[2:3] offset:40
	v_mov_b32_e32 v16, s14
	v_mov_b32_e32 v17, s15
	s_waitcnt vmcnt(0)
	v_readfirstlane_b32 s18, v10
	v_readfirstlane_b32 s19, v11
	s_and_b64 s[18:19], s[18:19], s[14:15]
	s_mul_i32 s19, s19, 24
	s_mul_hi_u32 s20, s18, 24
	s_mul_i32 s18, s18, 24
	s_add_i32 s19, s20, s19
	v_mov_b32_e32 v1, s19
	v_add_co_u32_e32 v14, vcc, s18, v8
	v_addc_co_u32_e32 v15, vcc, v9, v1, vcc
	global_store_dwordx2 v[14:15], v[18:19], off
	buffer_wbl2
	s_waitcnt vmcnt(0)
	global_atomic_cmpswap_x2 v[10:11], v35, v[16:19], s[2:3] offset:32 glc
	s_waitcnt vmcnt(0)
	v_cmp_ne_u64_e32 vcc, v[10:11], v[18:19]
	s_and_saveexec_b64 s[18:19], vcc
	s_cbranch_execz .LBB3_17
; %bb.15:                               ;   in Loop: Header=BB3_5 Depth=1
	s_mov_b64 s[20:21], 0
.LBB3_16:                               ;   Parent Loop BB3_5 Depth=1
                                        ; =>  This Inner Loop Header: Depth=2
	s_sleep 1
	global_store_dwordx2 v[14:15], v[10:11], off
	v_mov_b32_e32 v8, s14
	v_mov_b32_e32 v9, s15
	buffer_wbl2
	s_waitcnt vmcnt(0)
	global_atomic_cmpswap_x2 v[8:9], v35, v[8:11], s[2:3] offset:32 glc
	s_waitcnt vmcnt(0)
	v_cmp_eq_u64_e32 vcc, v[8:9], v[10:11]
	s_or_b64 s[20:21], vcc, s[20:21]
	v_pk_mov_b32 v[10:11], v[8:9], v[8:9] op_sel:[0,1]
	s_andn2_b64 exec, exec, s[20:21]
	s_cbranch_execnz .LBB3_16
.LBB3_17:                               ;   in Loop: Header=BB3_5 Depth=1
	s_or_b64 exec, exec, s[18:19]
	global_load_dwordx2 v[8:9], v35, s[2:3] offset:16
	s_mov_b64 s[20:21], exec
	v_mbcnt_lo_u32_b32 v1, s20, 0
	v_mbcnt_hi_u32_b32 v1, s21, v1
	v_cmp_eq_u32_e32 vcc, 0, v1
	s_and_saveexec_b64 s[18:19], vcc
	s_cbranch_execz .LBB3_19
; %bb.18:                               ;   in Loop: Header=BB3_5 Depth=1
	s_bcnt1_i32_b64 s20, s[20:21]
	v_mov_b32_e32 v2, s20
	buffer_wbl2
	s_waitcnt vmcnt(0)
	global_atomic_add_x2 v[8:9], v[2:3], off offset:8
.LBB3_19:                               ;   in Loop: Header=BB3_5 Depth=1
	s_or_b64 exec, exec, s[18:19]
	s_waitcnt vmcnt(0)
	global_load_dwordx2 v[10:11], v[8:9], off offset:16
	s_waitcnt vmcnt(0)
	v_cmp_eq_u64_e32 vcc, 0, v[10:11]
	s_cbranch_vccnz .LBB3_21
; %bb.20:                               ;   in Loop: Header=BB3_5 Depth=1
	global_load_dword v34, v[8:9], off offset:24
	s_waitcnt vmcnt(0)
	v_and_b32_e32 v1, 0xffffff, v34
	v_readfirstlane_b32 m0, v1
	buffer_wbl2
	global_store_dwordx2 v[10:11], v[34:35], off
	s_sendmsg sendmsg(MSG_INTERRUPT)
.LBB3_21:                               ;   in Loop: Header=BB3_5 Depth=1
	s_or_b64 exec, exec, s[16:17]
	v_add_co_u32_e32 v4, vcc, v4, v46
	v_addc_co_u32_e32 v5, vcc, 0, v5, vcc
	s_branch .LBB3_25
.LBB3_22:                               ;   in Loop: Header=BB3_25 Depth=2
	s_or_b64 exec, exec, s[16:17]
	v_readfirstlane_b32 s16, v1
	s_cmp_eq_u32 s16, 0
	s_cbranch_scc1 .LBB3_24
; %bb.23:                               ;   in Loop: Header=BB3_25 Depth=2
	s_sleep 1
	s_cbranch_execnz .LBB3_25
	s_branch .LBB3_27
.LBB3_24:                               ;   in Loop: Header=BB3_5 Depth=1
	s_branch .LBB3_27
.LBB3_25:                               ;   Parent Loop BB3_5 Depth=1
                                        ; =>  This Inner Loop Header: Depth=2
	v_mov_b32_e32 v1, 1
	s_and_saveexec_b64 s[16:17], s[0:1]
	s_cbranch_execz .LBB3_22
; %bb.26:                               ;   in Loop: Header=BB3_25 Depth=2
	global_load_dword v1, v[12:13], off offset:20 glc
	s_waitcnt vmcnt(0)
	buffer_invl2
	buffer_wbinvl1_vol
	v_and_b32_e32 v1, 1, v1
	s_branch .LBB3_22
.LBB3_27:                               ;   in Loop: Header=BB3_5 Depth=1
	global_load_dwordx2 v[12:13], v[4:5], off
	s_and_saveexec_b64 s[16:17], s[0:1]
	s_cbranch_execz .LBB3_31
; %bb.28:                               ;   in Loop: Header=BB3_5 Depth=1
	global_load_dwordx2 v[4:5], v35, s[2:3] offset:40
	global_load_dwordx2 v[14:15], v35, s[2:3] offset:24 glc
	global_load_dwordx2 v[16:17], v35, s[2:3]
	v_mov_b32_e32 v1, s15
	s_waitcnt vmcnt(2)
	v_add_co_u32_e32 v2, vcc, 1, v4
	v_addc_co_u32_e32 v11, vcc, 0, v5, vcc
	v_add_co_u32_e32 v8, vcc, s14, v2
	v_addc_co_u32_e32 v9, vcc, v11, v1, vcc
	v_cmp_eq_u64_e32 vcc, 0, v[8:9]
	v_cndmask_b32_e32 v9, v9, v11, vcc
	v_cndmask_b32_e32 v8, v8, v2, vcc
	v_and_b32_e32 v1, v9, v5
	v_and_b32_e32 v2, v8, v4
	v_mul_lo_u32 v1, v1, 24
	v_mul_hi_u32 v4, v2, 24
	v_mul_lo_u32 v2, v2, 24
	v_add_u32_e32 v1, v4, v1
	s_waitcnt vmcnt(0)
	v_add_co_u32_e32 v4, vcc, v16, v2
	v_addc_co_u32_e32 v5, vcc, v17, v1, vcc
	v_mov_b32_e32 v10, v14
	global_store_dwordx2 v[4:5], v[14:15], off
	v_mov_b32_e32 v11, v15
	buffer_wbl2
	s_waitcnt vmcnt(0)
	global_atomic_cmpswap_x2 v[10:11], v35, v[8:11], s[2:3] offset:24 glc
	s_waitcnt vmcnt(0)
	v_cmp_ne_u64_e32 vcc, v[10:11], v[14:15]
	s_and_b64 exec, exec, vcc
	s_cbranch_execz .LBB3_31
; %bb.29:                               ;   in Loop: Header=BB3_5 Depth=1
	s_mov_b64 s[0:1], 0
.LBB3_30:                               ;   Parent Loop BB3_5 Depth=1
                                        ; =>  This Inner Loop Header: Depth=2
	s_sleep 1
	global_store_dwordx2 v[4:5], v[10:11], off
	buffer_wbl2
	s_waitcnt vmcnt(0)
	global_atomic_cmpswap_x2 v[14:15], v35, v[8:11], s[2:3] offset:24 glc
	s_waitcnt vmcnt(0)
	v_cmp_eq_u64_e32 vcc, v[14:15], v[10:11]
	s_or_b64 s[0:1], vcc, s[0:1]
	v_pk_mov_b32 v[10:11], v[14:15], v[14:15] op_sel:[0,1]
	s_andn2_b64 exec, exec, s[0:1]
	s_cbranch_execnz .LBB3_30
.LBB3_31:                               ;   in Loop: Header=BB3_5 Depth=1
	s_or_b64 exec, exec, s[16:17]
	s_and_b64 vcc, exec, s[6:7]
	s_cbranch_vccz .LBB3_201
; %bb.32:                               ;   in Loop: Header=BB3_5 Depth=1
	s_waitcnt vmcnt(0)
	v_and_b32_e32 v36, 2, v12
	v_and_b32_e32 v8, -3, v12
	v_mov_b32_e32 v9, v13
	s_mov_b64 s[16:17], 9
	s_getpc_b64 s[14:15]
	s_add_u32 s14, s14, .str.5@rel32@lo+4
	s_addc_u32 s15, s15, .str.5@rel32@hi+12
	s_branch .LBB3_34
.LBB3_33:                               ;   in Loop: Header=BB3_34 Depth=2
	s_or_b64 exec, exec, s[22:23]
	s_sub_u32 s16, s16, s18
	s_subb_u32 s17, s17, s19
	s_add_u32 s14, s14, s18
	s_addc_u32 s15, s15, s19
	s_cmp_lg_u64 s[16:17], 0
	s_cbranch_scc0 .LBB3_115
.LBB3_34:                               ;   Parent Loop BB3_5 Depth=1
                                        ; =>  This Loop Header: Depth=2
                                        ;       Child Loop BB3_37 Depth 3
                                        ;       Child Loop BB3_44 Depth 3
	;; [unrolled: 1-line block ×11, first 2 shown]
	v_cmp_lt_u64_e64 s[0:1], s[16:17], 56
	s_and_b64 s[0:1], s[0:1], exec
	v_cmp_gt_u64_e64 s[0:1], s[16:17], 7
	s_cselect_b32 s19, s17, 0
	s_cselect_b32 s18, s16, 56
	s_and_b64 vcc, exec, s[0:1]
	s_cbranch_vccnz .LBB3_39
; %bb.35:                               ;   in Loop: Header=BB3_34 Depth=2
	s_mov_b64 s[0:1], 0
	s_cmp_eq_u64 s[16:17], 0
	s_waitcnt vmcnt(0)
	v_pk_mov_b32 v[10:11], 0, 0
	s_cbranch_scc1 .LBB3_38
; %bb.36:                               ;   in Loop: Header=BB3_34 Depth=2
	s_lshl_b64 s[20:21], s[18:19], 3
	s_mov_b64 s[22:23], 0
	v_pk_mov_b32 v[10:11], 0, 0
	s_mov_b64 s[24:25], s[14:15]
.LBB3_37:                               ;   Parent Loop BB3_5 Depth=1
                                        ;     Parent Loop BB3_34 Depth=2
                                        ; =>    This Inner Loop Header: Depth=3
	global_load_ubyte v1, v35, s[24:25]
	s_waitcnt vmcnt(0)
	v_and_b32_e32 v34, 0xffff, v1
	v_lshlrev_b64 v[4:5], s22, v[34:35]
	s_add_u32 s22, s22, 8
	s_addc_u32 s23, s23, 0
	s_add_u32 s24, s24, 1
	s_addc_u32 s25, s25, 0
	v_or_b32_e32 v10, v4, v10
	s_cmp_lg_u32 s20, s22
	v_or_b32_e32 v11, v5, v11
	s_cbranch_scc1 .LBB3_37
.LBB3_38:                               ;   in Loop: Header=BB3_34 Depth=2
	s_mov_b32 s24, 0
	s_andn2_b64 vcc, exec, s[0:1]
	s_mov_b64 s[0:1], s[14:15]
	s_cbranch_vccz .LBB3_40
	s_branch .LBB3_41
.LBB3_39:                               ;   in Loop: Header=BB3_34 Depth=2
                                        ; implicit-def: $vgpr10_vgpr11
                                        ; implicit-def: $sgpr24
	s_mov_b64 s[0:1], s[14:15]
.LBB3_40:                               ;   in Loop: Header=BB3_34 Depth=2
	global_load_dwordx2 v[10:11], v35, s[14:15]
	s_add_i32 s24, s18, -8
	s_add_u32 s0, s14, 8
	s_addc_u32 s1, s15, 0
.LBB3_41:                               ;   in Loop: Header=BB3_34 Depth=2
	s_cmp_gt_u32 s24, 7
	s_cbranch_scc1 .LBB3_45
; %bb.42:                               ;   in Loop: Header=BB3_34 Depth=2
	s_cmp_eq_u32 s24, 0
	s_cbranch_scc1 .LBB3_46
; %bb.43:                               ;   in Loop: Header=BB3_34 Depth=2
	s_mov_b64 s[20:21], 0
	v_pk_mov_b32 v[14:15], 0, 0
	s_mov_b64 s[22:23], 0
.LBB3_44:                               ;   Parent Loop BB3_5 Depth=1
                                        ;     Parent Loop BB3_34 Depth=2
                                        ; =>    This Inner Loop Header: Depth=3
	s_add_u32 s26, s0, s22
	s_addc_u32 s27, s1, s23
	global_load_ubyte v1, v35, s[26:27]
	s_add_u32 s22, s22, 1
	s_addc_u32 s23, s23, 0
	s_waitcnt vmcnt(0)
	v_and_b32_e32 v34, 0xffff, v1
	v_lshlrev_b64 v[4:5], s20, v[34:35]
	s_add_u32 s20, s20, 8
	s_addc_u32 s21, s21, 0
	v_or_b32_e32 v14, v4, v14
	s_cmp_lg_u32 s24, s22
	v_or_b32_e32 v15, v5, v15
	s_cbranch_scc1 .LBB3_44
	s_branch .LBB3_47
.LBB3_45:                               ;   in Loop: Header=BB3_34 Depth=2
                                        ; implicit-def: $vgpr14_vgpr15
                                        ; implicit-def: $sgpr25
	s_branch .LBB3_48
.LBB3_46:                               ;   in Loop: Header=BB3_34 Depth=2
	v_pk_mov_b32 v[14:15], 0, 0
.LBB3_47:                               ;   in Loop: Header=BB3_34 Depth=2
	s_mov_b32 s25, 0
	s_cbranch_execnz .LBB3_49
.LBB3_48:                               ;   in Loop: Header=BB3_34 Depth=2
	global_load_dwordx2 v[14:15], v35, s[0:1]
	s_add_i32 s25, s24, -8
	s_add_u32 s0, s0, 8
	s_addc_u32 s1, s1, 0
.LBB3_49:                               ;   in Loop: Header=BB3_34 Depth=2
	s_cmp_gt_u32 s25, 7
	s_cbranch_scc1 .LBB3_53
; %bb.50:                               ;   in Loop: Header=BB3_34 Depth=2
	s_cmp_eq_u32 s25, 0
	s_cbranch_scc1 .LBB3_54
; %bb.51:                               ;   in Loop: Header=BB3_34 Depth=2
	s_mov_b64 s[20:21], 0
	v_pk_mov_b32 v[16:17], 0, 0
	s_mov_b64 s[22:23], 0
.LBB3_52:                               ;   Parent Loop BB3_5 Depth=1
                                        ;     Parent Loop BB3_34 Depth=2
                                        ; =>    This Inner Loop Header: Depth=3
	s_add_u32 s26, s0, s22
	s_addc_u32 s27, s1, s23
	global_load_ubyte v1, v35, s[26:27]
	s_add_u32 s22, s22, 1
	s_addc_u32 s23, s23, 0
	s_waitcnt vmcnt(0)
	v_and_b32_e32 v34, 0xffff, v1
	v_lshlrev_b64 v[4:5], s20, v[34:35]
	s_add_u32 s20, s20, 8
	s_addc_u32 s21, s21, 0
	v_or_b32_e32 v16, v4, v16
	s_cmp_lg_u32 s25, s22
	v_or_b32_e32 v17, v5, v17
	s_cbranch_scc1 .LBB3_52
	s_branch .LBB3_55
.LBB3_53:                               ;   in Loop: Header=BB3_34 Depth=2
                                        ; implicit-def: $sgpr24
	s_branch .LBB3_56
.LBB3_54:                               ;   in Loop: Header=BB3_34 Depth=2
	v_pk_mov_b32 v[16:17], 0, 0
.LBB3_55:                               ;   in Loop: Header=BB3_34 Depth=2
	s_mov_b32 s24, 0
	s_cbranch_execnz .LBB3_57
.LBB3_56:                               ;   in Loop: Header=BB3_34 Depth=2
	global_load_dwordx2 v[16:17], v35, s[0:1]
	s_add_i32 s24, s25, -8
	s_add_u32 s0, s0, 8
	s_addc_u32 s1, s1, 0
.LBB3_57:                               ;   in Loop: Header=BB3_34 Depth=2
	s_cmp_gt_u32 s24, 7
	s_cbranch_scc1 .LBB3_61
; %bb.58:                               ;   in Loop: Header=BB3_34 Depth=2
	s_cmp_eq_u32 s24, 0
	s_cbranch_scc1 .LBB3_62
; %bb.59:                               ;   in Loop: Header=BB3_34 Depth=2
	s_mov_b64 s[20:21], 0
	v_pk_mov_b32 v[18:19], 0, 0
	s_mov_b64 s[22:23], 0
.LBB3_60:                               ;   Parent Loop BB3_5 Depth=1
                                        ;     Parent Loop BB3_34 Depth=2
                                        ; =>    This Inner Loop Header: Depth=3
	s_add_u32 s26, s0, s22
	s_addc_u32 s27, s1, s23
	global_load_ubyte v1, v35, s[26:27]
	s_add_u32 s22, s22, 1
	s_addc_u32 s23, s23, 0
	s_waitcnt vmcnt(0)
	v_and_b32_e32 v34, 0xffff, v1
	v_lshlrev_b64 v[4:5], s20, v[34:35]
	s_add_u32 s20, s20, 8
	s_addc_u32 s21, s21, 0
	v_or_b32_e32 v18, v4, v18
	s_cmp_lg_u32 s24, s22
	v_or_b32_e32 v19, v5, v19
	s_cbranch_scc1 .LBB3_60
	s_branch .LBB3_63
.LBB3_61:                               ;   in Loop: Header=BB3_34 Depth=2
                                        ; implicit-def: $vgpr18_vgpr19
                                        ; implicit-def: $sgpr25
	s_branch .LBB3_64
.LBB3_62:                               ;   in Loop: Header=BB3_34 Depth=2
	v_pk_mov_b32 v[18:19], 0, 0
.LBB3_63:                               ;   in Loop: Header=BB3_34 Depth=2
	s_mov_b32 s25, 0
	s_cbranch_execnz .LBB3_65
.LBB3_64:                               ;   in Loop: Header=BB3_34 Depth=2
	global_load_dwordx2 v[18:19], v35, s[0:1]
	s_add_i32 s25, s24, -8
	s_add_u32 s0, s0, 8
	s_addc_u32 s1, s1, 0
.LBB3_65:                               ;   in Loop: Header=BB3_34 Depth=2
	s_cmp_gt_u32 s25, 7
	s_cbranch_scc1 .LBB3_69
; %bb.66:                               ;   in Loop: Header=BB3_34 Depth=2
	s_cmp_eq_u32 s25, 0
	s_cbranch_scc1 .LBB3_70
; %bb.67:                               ;   in Loop: Header=BB3_34 Depth=2
	s_mov_b64 s[20:21], 0
	v_pk_mov_b32 v[20:21], 0, 0
	s_mov_b64 s[22:23], 0
.LBB3_68:                               ;   Parent Loop BB3_5 Depth=1
                                        ;     Parent Loop BB3_34 Depth=2
                                        ; =>    This Inner Loop Header: Depth=3
	s_add_u32 s26, s0, s22
	s_addc_u32 s27, s1, s23
	global_load_ubyte v1, v35, s[26:27]
	s_add_u32 s22, s22, 1
	s_addc_u32 s23, s23, 0
	s_waitcnt vmcnt(0)
	v_and_b32_e32 v34, 0xffff, v1
	v_lshlrev_b64 v[4:5], s20, v[34:35]
	s_add_u32 s20, s20, 8
	s_addc_u32 s21, s21, 0
	v_or_b32_e32 v20, v4, v20
	s_cmp_lg_u32 s25, s22
	v_or_b32_e32 v21, v5, v21
	s_cbranch_scc1 .LBB3_68
	s_branch .LBB3_71
.LBB3_69:                               ;   in Loop: Header=BB3_34 Depth=2
                                        ; implicit-def: $sgpr24
	s_branch .LBB3_72
.LBB3_70:                               ;   in Loop: Header=BB3_34 Depth=2
	v_pk_mov_b32 v[20:21], 0, 0
.LBB3_71:                               ;   in Loop: Header=BB3_34 Depth=2
	s_mov_b32 s24, 0
	s_cbranch_execnz .LBB3_73
.LBB3_72:                               ;   in Loop: Header=BB3_34 Depth=2
	global_load_dwordx2 v[20:21], v35, s[0:1]
	s_add_i32 s24, s25, -8
	s_add_u32 s0, s0, 8
	s_addc_u32 s1, s1, 0
.LBB3_73:                               ;   in Loop: Header=BB3_34 Depth=2
	s_cmp_gt_u32 s24, 7
	s_cbranch_scc1 .LBB3_77
; %bb.74:                               ;   in Loop: Header=BB3_34 Depth=2
	s_cmp_eq_u32 s24, 0
	s_cbranch_scc1 .LBB3_78
; %bb.75:                               ;   in Loop: Header=BB3_34 Depth=2
	s_mov_b64 s[20:21], 0
	v_pk_mov_b32 v[22:23], 0, 0
	s_mov_b64 s[22:23], 0
.LBB3_76:                               ;   Parent Loop BB3_5 Depth=1
                                        ;     Parent Loop BB3_34 Depth=2
                                        ; =>    This Inner Loop Header: Depth=3
	s_add_u32 s26, s0, s22
	s_addc_u32 s27, s1, s23
	global_load_ubyte v1, v35, s[26:27]
	s_add_u32 s22, s22, 1
	s_addc_u32 s23, s23, 0
	s_waitcnt vmcnt(0)
	v_and_b32_e32 v34, 0xffff, v1
	v_lshlrev_b64 v[4:5], s20, v[34:35]
	s_add_u32 s20, s20, 8
	s_addc_u32 s21, s21, 0
	v_or_b32_e32 v22, v4, v22
	s_cmp_lg_u32 s24, s22
	v_or_b32_e32 v23, v5, v23
	s_cbranch_scc1 .LBB3_76
	s_branch .LBB3_79
.LBB3_77:                               ;   in Loop: Header=BB3_34 Depth=2
                                        ; implicit-def: $vgpr22_vgpr23
                                        ; implicit-def: $sgpr25
	s_branch .LBB3_80
.LBB3_78:                               ;   in Loop: Header=BB3_34 Depth=2
	v_pk_mov_b32 v[22:23], 0, 0
.LBB3_79:                               ;   in Loop: Header=BB3_34 Depth=2
	s_mov_b32 s25, 0
	s_cbranch_execnz .LBB3_81
.LBB3_80:                               ;   in Loop: Header=BB3_34 Depth=2
	global_load_dwordx2 v[22:23], v35, s[0:1]
	s_add_i32 s25, s24, -8
	s_add_u32 s0, s0, 8
	s_addc_u32 s1, s1, 0
.LBB3_81:                               ;   in Loop: Header=BB3_34 Depth=2
	s_cmp_gt_u32 s25, 7
	s_cbranch_scc1 .LBB3_85
; %bb.82:                               ;   in Loop: Header=BB3_34 Depth=2
	s_cmp_eq_u32 s25, 0
	s_cbranch_scc1 .LBB3_86
; %bb.83:                               ;   in Loop: Header=BB3_34 Depth=2
	s_mov_b64 s[20:21], 0
	v_pk_mov_b32 v[24:25], 0, 0
	s_mov_b64 s[22:23], s[0:1]
.LBB3_84:                               ;   Parent Loop BB3_5 Depth=1
                                        ;     Parent Loop BB3_34 Depth=2
                                        ; =>    This Inner Loop Header: Depth=3
	global_load_ubyte v1, v35, s[22:23]
	s_add_i32 s25, s25, -1
	s_waitcnt vmcnt(0)
	v_and_b32_e32 v34, 0xffff, v1
	v_lshlrev_b64 v[4:5], s20, v[34:35]
	s_add_u32 s20, s20, 8
	s_addc_u32 s21, s21, 0
	s_add_u32 s22, s22, 1
	s_addc_u32 s23, s23, 0
	v_or_b32_e32 v24, v4, v24
	s_cmp_lg_u32 s25, 0
	v_or_b32_e32 v25, v5, v25
	s_cbranch_scc1 .LBB3_84
	s_branch .LBB3_87
.LBB3_85:                               ;   in Loop: Header=BB3_34 Depth=2
	s_branch .LBB3_88
.LBB3_86:                               ;   in Loop: Header=BB3_34 Depth=2
	v_pk_mov_b32 v[24:25], 0, 0
.LBB3_87:                               ;   in Loop: Header=BB3_34 Depth=2
	s_cbranch_execnz .LBB3_89
.LBB3_88:                               ;   in Loop: Header=BB3_34 Depth=2
	global_load_dwordx2 v[24:25], v35, s[0:1]
.LBB3_89:                               ;   in Loop: Header=BB3_34 Depth=2
	v_readfirstlane_b32 s0, v32
	v_cmp_eq_u32_e64 s[0:1], s0, v32
	v_pk_mov_b32 v[4:5], 0, 0
	s_and_saveexec_b64 s[20:21], s[0:1]
	s_cbranch_execz .LBB3_95
; %bb.90:                               ;   in Loop: Header=BB3_34 Depth=2
	global_load_dwordx2 v[28:29], v35, s[2:3] offset:24 glc
	s_waitcnt vmcnt(0)
	buffer_invl2
	buffer_wbinvl1_vol
	global_load_dwordx2 v[4:5], v35, s[2:3] offset:40
	global_load_dwordx2 v[26:27], v35, s[2:3]
	s_waitcnt vmcnt(1)
	v_and_b32_e32 v1, v4, v28
	v_and_b32_e32 v2, v5, v29
	v_mul_lo_u32 v2, v2, 24
	v_mul_hi_u32 v4, v1, 24
	v_mul_lo_u32 v1, v1, 24
	v_add_u32_e32 v2, v4, v2
	s_waitcnt vmcnt(0)
	v_add_co_u32_e32 v4, vcc, v26, v1
	v_addc_co_u32_e32 v5, vcc, v27, v2, vcc
	global_load_dwordx2 v[26:27], v[4:5], off glc
	s_waitcnt vmcnt(0)
	global_atomic_cmpswap_x2 v[4:5], v35, v[26:29], s[2:3] offset:24 glc
	s_waitcnt vmcnt(0)
	buffer_invl2
	buffer_wbinvl1_vol
	v_cmp_ne_u64_e32 vcc, v[4:5], v[28:29]
	s_and_saveexec_b64 s[22:23], vcc
	s_cbranch_execz .LBB3_94
; %bb.91:                               ;   in Loop: Header=BB3_34 Depth=2
	s_mov_b64 s[24:25], 0
.LBB3_92:                               ;   Parent Loop BB3_5 Depth=1
                                        ;     Parent Loop BB3_34 Depth=2
                                        ; =>    This Inner Loop Header: Depth=3
	s_sleep 1
	global_load_dwordx2 v[26:27], v35, s[2:3] offset:40
	global_load_dwordx2 v[38:39], v35, s[2:3]
	v_pk_mov_b32 v[28:29], v[4:5], v[4:5] op_sel:[0,1]
	s_waitcnt vmcnt(1)
	v_and_b32_e32 v2, v26, v28
	s_waitcnt vmcnt(0)
	v_mad_u64_u32 v[4:5], s[26:27], v2, 24, v[38:39]
	v_and_b32_e32 v1, v27, v29
	v_mov_b32_e32 v2, v5
	v_mad_u64_u32 v[26:27], s[26:27], v1, 24, v[2:3]
	v_mov_b32_e32 v5, v26
	global_load_dwordx2 v[26:27], v[4:5], off glc
	s_waitcnt vmcnt(0)
	global_atomic_cmpswap_x2 v[4:5], v35, v[26:29], s[2:3] offset:24 glc
	s_waitcnt vmcnt(0)
	buffer_invl2
	buffer_wbinvl1_vol
	v_cmp_eq_u64_e32 vcc, v[4:5], v[28:29]
	s_or_b64 s[24:25], vcc, s[24:25]
	s_andn2_b64 exec, exec, s[24:25]
	s_cbranch_execnz .LBB3_92
; %bb.93:                               ;   in Loop: Header=BB3_34 Depth=2
	s_or_b64 exec, exec, s[24:25]
.LBB3_94:                               ;   in Loop: Header=BB3_34 Depth=2
	s_or_b64 exec, exec, s[22:23]
.LBB3_95:                               ;   in Loop: Header=BB3_34 Depth=2
	s_or_b64 exec, exec, s[20:21]
	global_load_dwordx2 v[38:39], v35, s[2:3] offset:40
	global_load_dwordx4 v[26:29], v35, s[2:3]
	v_readfirstlane_b32 s20, v4
	v_readfirstlane_b32 s21, v5
	s_mov_b64 s[22:23], exec
	s_waitcnt vmcnt(1)
	v_readfirstlane_b32 s24, v38
	v_readfirstlane_b32 s25, v39
	s_and_b64 s[24:25], s[20:21], s[24:25]
	s_mul_i32 s26, s25, 24
	s_mul_hi_u32 s27, s24, 24
	s_mul_i32 s33, s24, 24
	s_add_i32 s26, s27, s26
	v_mov_b32_e32 v1, s26
	s_waitcnt vmcnt(0)
	v_add_co_u32_e32 v38, vcc, s33, v26
	v_addc_co_u32_e32 v39, vcc, v27, v1, vcc
	s_and_saveexec_b64 s[26:27], s[0:1]
	s_cbranch_execz .LBB3_97
; %bb.96:                               ;   in Loop: Header=BB3_34 Depth=2
	v_pk_mov_b32 v[4:5], s[22:23], s[22:23] op_sel:[0,1]
	global_store_dwordx4 v[38:39], v[4:7], off offset:8
.LBB3_97:                               ;   in Loop: Header=BB3_34 Depth=2
	s_or_b64 exec, exec, s[26:27]
	s_lshl_b64 s[22:23], s[24:25], 12
	v_mov_b32_e32 v1, s23
	v_add_co_u32_e32 v4, vcc, s22, v28
	v_addc_co_u32_e32 v1, vcc, v29, v1, vcc
	v_or_b32_e32 v2, 0, v9
	v_or_b32_e32 v5, v8, v36
	v_cmp_gt_u64_e64 vcc, s[16:17], 56
	s_lshl_b32 s22, s18, 2
	v_cndmask_b32_e32 v9, v2, v9, vcc
	v_cndmask_b32_e32 v2, v5, v8, vcc
	s_add_i32 s22, s22, 28
	s_and_b32 s22, s22, 0x1e0
	v_and_b32_e32 v2, 0xffffff1f, v2
	v_or_b32_e32 v8, s22, v2
	v_readfirstlane_b32 s22, v4
	v_readfirstlane_b32 s23, v1
	s_nop 4
	global_store_dwordx4 v46, v[8:11], s[22:23]
	global_store_dwordx4 v46, v[14:17], s[22:23] offset:16
	global_store_dwordx4 v46, v[18:21], s[22:23] offset:32
	global_store_dwordx4 v46, v[22:25], s[22:23] offset:48
	s_and_saveexec_b64 s[22:23], s[0:1]
	s_cbranch_execz .LBB3_105
; %bb.98:                               ;   in Loop: Header=BB3_34 Depth=2
	global_load_dwordx2 v[18:19], v35, s[2:3] offset:32 glc
	global_load_dwordx2 v[8:9], v35, s[2:3] offset:40
	v_mov_b32_e32 v16, s20
	v_mov_b32_e32 v17, s21
	s_waitcnt vmcnt(0)
	v_readfirstlane_b32 s24, v8
	v_readfirstlane_b32 s25, v9
	s_and_b64 s[24:25], s[24:25], s[20:21]
	s_mul_i32 s25, s25, 24
	s_mul_hi_u32 s26, s24, 24
	s_mul_i32 s24, s24, 24
	s_add_i32 s25, s26, s25
	v_mov_b32_e32 v2, s25
	v_add_co_u32_e32 v14, vcc, s24, v26
	v_addc_co_u32_e32 v15, vcc, v27, v2, vcc
	global_store_dwordx2 v[14:15], v[18:19], off
	buffer_wbl2
	s_waitcnt vmcnt(0)
	global_atomic_cmpswap_x2 v[10:11], v35, v[16:19], s[2:3] offset:32 glc
	s_waitcnt vmcnt(0)
	v_cmp_ne_u64_e32 vcc, v[10:11], v[18:19]
	s_and_saveexec_b64 s[24:25], vcc
	s_cbranch_execz .LBB3_101
; %bb.99:                               ;   in Loop: Header=BB3_34 Depth=2
	s_mov_b64 s[26:27], 0
.LBB3_100:                              ;   Parent Loop BB3_5 Depth=1
                                        ;     Parent Loop BB3_34 Depth=2
                                        ; =>    This Inner Loop Header: Depth=3
	s_sleep 1
	global_store_dwordx2 v[14:15], v[10:11], off
	v_mov_b32_e32 v8, s20
	v_mov_b32_e32 v9, s21
	buffer_wbl2
	s_waitcnt vmcnt(0)
	global_atomic_cmpswap_x2 v[8:9], v35, v[8:11], s[2:3] offset:32 glc
	s_waitcnt vmcnt(0)
	v_cmp_eq_u64_e32 vcc, v[8:9], v[10:11]
	s_or_b64 s[26:27], vcc, s[26:27]
	v_pk_mov_b32 v[10:11], v[8:9], v[8:9] op_sel:[0,1]
	s_andn2_b64 exec, exec, s[26:27]
	s_cbranch_execnz .LBB3_100
.LBB3_101:                              ;   in Loop: Header=BB3_34 Depth=2
	s_or_b64 exec, exec, s[24:25]
	global_load_dwordx2 v[8:9], v35, s[2:3] offset:16
	s_mov_b64 s[26:27], exec
	v_mbcnt_lo_u32_b32 v2, s26, 0
	v_mbcnt_hi_u32_b32 v2, s27, v2
	v_cmp_eq_u32_e32 vcc, 0, v2
	s_and_saveexec_b64 s[24:25], vcc
	s_cbranch_execz .LBB3_103
; %bb.102:                              ;   in Loop: Header=BB3_34 Depth=2
	s_bcnt1_i32_b64 s26, s[26:27]
	v_mov_b32_e32 v2, s26
	buffer_wbl2
	s_waitcnt vmcnt(0)
	global_atomic_add_x2 v[8:9], v[2:3], off offset:8
.LBB3_103:                              ;   in Loop: Header=BB3_34 Depth=2
	s_or_b64 exec, exec, s[24:25]
	s_waitcnt vmcnt(0)
	global_load_dwordx2 v[10:11], v[8:9], off offset:16
	s_waitcnt vmcnt(0)
	v_cmp_eq_u64_e32 vcc, 0, v[10:11]
	s_cbranch_vccnz .LBB3_105
; %bb.104:                              ;   in Loop: Header=BB3_34 Depth=2
	global_load_dword v34, v[8:9], off offset:24
	s_waitcnt vmcnt(0)
	v_and_b32_e32 v2, 0xffffff, v34
	v_readfirstlane_b32 m0, v2
	buffer_wbl2
	global_store_dwordx2 v[10:11], v[34:35], off
	s_sendmsg sendmsg(MSG_INTERRUPT)
.LBB3_105:                              ;   in Loop: Header=BB3_34 Depth=2
	s_or_b64 exec, exec, s[22:23]
	v_add_co_u32_e32 v4, vcc, v4, v46
	v_addc_co_u32_e32 v5, vcc, 0, v1, vcc
	s_branch .LBB3_109
.LBB3_106:                              ;   in Loop: Header=BB3_109 Depth=3
	s_or_b64 exec, exec, s[22:23]
	v_readfirstlane_b32 s22, v1
	s_cmp_eq_u32 s22, 0
	s_cbranch_scc1 .LBB3_108
; %bb.107:                              ;   in Loop: Header=BB3_109 Depth=3
	s_sleep 1
	s_cbranch_execnz .LBB3_109
	s_branch .LBB3_111
.LBB3_108:                              ;   in Loop: Header=BB3_34 Depth=2
	s_branch .LBB3_111
.LBB3_109:                              ;   Parent Loop BB3_5 Depth=1
                                        ;     Parent Loop BB3_34 Depth=2
                                        ; =>    This Inner Loop Header: Depth=3
	v_mov_b32_e32 v1, 1
	s_and_saveexec_b64 s[22:23], s[0:1]
	s_cbranch_execz .LBB3_106
; %bb.110:                              ;   in Loop: Header=BB3_109 Depth=3
	global_load_dword v1, v[38:39], off offset:20 glc
	s_waitcnt vmcnt(0)
	buffer_invl2
	buffer_wbinvl1_vol
	v_and_b32_e32 v1, 1, v1
	s_branch .LBB3_106
.LBB3_111:                              ;   in Loop: Header=BB3_34 Depth=2
	global_load_dwordx4 v[8:11], v[4:5], off
	s_and_saveexec_b64 s[22:23], s[0:1]
	s_cbranch_execz .LBB3_33
; %bb.112:                              ;   in Loop: Header=BB3_34 Depth=2
	global_load_dwordx2 v[4:5], v35, s[2:3] offset:40
	global_load_dwordx2 v[10:11], v35, s[2:3] offset:24 glc
	global_load_dwordx2 v[18:19], v35, s[2:3]
	v_mov_b32_e32 v1, s21
	s_waitcnt vmcnt(2)
	v_add_co_u32_e32 v2, vcc, 1, v4
	v_addc_co_u32_e32 v17, vcc, 0, v5, vcc
	v_add_co_u32_e32 v14, vcc, s20, v2
	v_addc_co_u32_e32 v15, vcc, v17, v1, vcc
	v_cmp_eq_u64_e32 vcc, 0, v[14:15]
	v_cndmask_b32_e32 v15, v15, v17, vcc
	v_cndmask_b32_e32 v14, v14, v2, vcc
	v_and_b32_e32 v1, v15, v5
	v_and_b32_e32 v2, v14, v4
	v_mul_lo_u32 v1, v1, 24
	v_mul_hi_u32 v4, v2, 24
	v_mul_lo_u32 v2, v2, 24
	v_add_u32_e32 v1, v4, v1
	s_waitcnt vmcnt(0)
	v_add_co_u32_e32 v4, vcc, v18, v2
	v_addc_co_u32_e32 v5, vcc, v19, v1, vcc
	v_mov_b32_e32 v16, v10
	global_store_dwordx2 v[4:5], v[10:11], off
	v_mov_b32_e32 v17, v11
	buffer_wbl2
	s_waitcnt vmcnt(0)
	global_atomic_cmpswap_x2 v[16:17], v35, v[14:17], s[2:3] offset:24 glc
	s_waitcnt vmcnt(0)
	v_cmp_ne_u64_e32 vcc, v[16:17], v[10:11]
	s_and_b64 exec, exec, vcc
	s_cbranch_execz .LBB3_33
; %bb.113:                              ;   in Loop: Header=BB3_34 Depth=2
	s_mov_b64 s[0:1], 0
.LBB3_114:                              ;   Parent Loop BB3_5 Depth=1
                                        ;     Parent Loop BB3_34 Depth=2
                                        ; =>    This Inner Loop Header: Depth=3
	s_sleep 1
	global_store_dwordx2 v[4:5], v[16:17], off
	buffer_wbl2
	s_waitcnt vmcnt(0)
	global_atomic_cmpswap_x2 v[10:11], v35, v[14:17], s[2:3] offset:24 glc
	s_waitcnt vmcnt(0)
	v_cmp_eq_u64_e32 vcc, v[10:11], v[16:17]
	s_or_b64 s[0:1], vcc, s[0:1]
	v_pk_mov_b32 v[16:17], v[10:11], v[10:11] op_sel:[0,1]
	s_andn2_b64 exec, exec, s[0:1]
	s_cbranch_execnz .LBB3_114
	s_branch .LBB3_33
.LBB3_115:                              ;   in Loop: Header=BB3_5 Depth=1
.LBB3_116:                              ;   in Loop: Header=BB3_5 Depth=1
	s_and_b64 vcc, exec, s[12:13]
	s_cbranch_vccz .LBB3_229
.LBB3_117:                              ;   in Loop: Header=BB3_5 Depth=1
	s_waitcnt vmcnt(0)
	v_and_b32_e32 v36, 2, v8
	v_and_b32_e32 v10, -3, v8
	v_mov_b32_e32 v11, v9
	s_mov_b64 s[16:17], 56
	s_getpc_b64 s[14:15]
	s_add_u32 s14, s14, .str.4@rel32@lo+4
	s_addc_u32 s15, s15, .str.4@rel32@hi+12
	s_branch .LBB3_119
.LBB3_118:                              ;   in Loop: Header=BB3_119 Depth=2
	s_or_b64 exec, exec, s[22:23]
	s_sub_u32 s16, s16, s18
	s_subb_u32 s17, s17, s19
	s_add_u32 s14, s14, s18
	s_addc_u32 s15, s15, s19
	s_cmp_lg_u64 s[16:17], 0
	s_cbranch_scc0 .LBB3_200
.LBB3_119:                              ;   Parent Loop BB3_5 Depth=1
                                        ; =>  This Loop Header: Depth=2
                                        ;       Child Loop BB3_122 Depth 3
                                        ;       Child Loop BB3_129 Depth 3
	;; [unrolled: 1-line block ×11, first 2 shown]
	v_cmp_lt_u64_e64 s[0:1], s[16:17], 56
	s_and_b64 s[0:1], s[0:1], exec
	v_cmp_gt_u64_e64 s[0:1], s[16:17], 7
	s_cselect_b32 s19, s17, 0
	s_cselect_b32 s18, s16, 56
	s_and_b64 vcc, exec, s[0:1]
	s_cbranch_vccnz .LBB3_124
; %bb.120:                              ;   in Loop: Header=BB3_119 Depth=2
	s_mov_b64 s[0:1], 0
	s_cmp_eq_u64 s[16:17], 0
	s_waitcnt vmcnt(0)
	v_pk_mov_b32 v[12:13], 0, 0
	s_cbranch_scc1 .LBB3_123
; %bb.121:                              ;   in Loop: Header=BB3_119 Depth=2
	s_lshl_b64 s[20:21], s[18:19], 3
	s_mov_b64 s[22:23], 0
	v_pk_mov_b32 v[12:13], 0, 0
	s_mov_b64 s[24:25], s[14:15]
.LBB3_122:                              ;   Parent Loop BB3_5 Depth=1
                                        ;     Parent Loop BB3_119 Depth=2
                                        ; =>    This Inner Loop Header: Depth=3
	global_load_ubyte v1, v35, s[24:25]
	s_waitcnt vmcnt(0)
	v_and_b32_e32 v34, 0xffff, v1
	v_lshlrev_b64 v[4:5], s22, v[34:35]
	s_add_u32 s22, s22, 8
	s_addc_u32 s23, s23, 0
	s_add_u32 s24, s24, 1
	s_addc_u32 s25, s25, 0
	v_or_b32_e32 v12, v4, v12
	s_cmp_lg_u32 s20, s22
	v_or_b32_e32 v13, v5, v13
	s_cbranch_scc1 .LBB3_122
.LBB3_123:                              ;   in Loop: Header=BB3_119 Depth=2
	s_mov_b32 s24, 0
	s_andn2_b64 vcc, exec, s[0:1]
	s_mov_b64 s[0:1], s[14:15]
	s_cbranch_vccz .LBB3_125
	s_branch .LBB3_126
.LBB3_124:                              ;   in Loop: Header=BB3_119 Depth=2
                                        ; implicit-def: $vgpr12_vgpr13
                                        ; implicit-def: $sgpr24
	s_mov_b64 s[0:1], s[14:15]
.LBB3_125:                              ;   in Loop: Header=BB3_119 Depth=2
	global_load_dwordx2 v[12:13], v35, s[14:15]
	s_add_i32 s24, s18, -8
	s_add_u32 s0, s14, 8
	s_addc_u32 s1, s15, 0
.LBB3_126:                              ;   in Loop: Header=BB3_119 Depth=2
	s_cmp_gt_u32 s24, 7
	s_cbranch_scc1 .LBB3_130
; %bb.127:                              ;   in Loop: Header=BB3_119 Depth=2
	s_cmp_eq_u32 s24, 0
	s_cbranch_scc1 .LBB3_131
; %bb.128:                              ;   in Loop: Header=BB3_119 Depth=2
	s_mov_b64 s[20:21], 0
	v_pk_mov_b32 v[14:15], 0, 0
	s_mov_b64 s[22:23], 0
.LBB3_129:                              ;   Parent Loop BB3_5 Depth=1
                                        ;     Parent Loop BB3_119 Depth=2
                                        ; =>    This Inner Loop Header: Depth=3
	s_add_u32 s26, s0, s22
	s_addc_u32 s27, s1, s23
	global_load_ubyte v1, v35, s[26:27]
	s_add_u32 s22, s22, 1
	s_addc_u32 s23, s23, 0
	s_waitcnt vmcnt(0)
	v_and_b32_e32 v34, 0xffff, v1
	v_lshlrev_b64 v[4:5], s20, v[34:35]
	s_add_u32 s20, s20, 8
	s_addc_u32 s21, s21, 0
	v_or_b32_e32 v14, v4, v14
	s_cmp_lg_u32 s24, s22
	v_or_b32_e32 v15, v5, v15
	s_cbranch_scc1 .LBB3_129
	s_branch .LBB3_132
.LBB3_130:                              ;   in Loop: Header=BB3_119 Depth=2
                                        ; implicit-def: $vgpr14_vgpr15
                                        ; implicit-def: $sgpr25
	s_branch .LBB3_133
.LBB3_131:                              ;   in Loop: Header=BB3_119 Depth=2
	v_pk_mov_b32 v[14:15], 0, 0
.LBB3_132:                              ;   in Loop: Header=BB3_119 Depth=2
	s_mov_b32 s25, 0
	s_cbranch_execnz .LBB3_134
.LBB3_133:                              ;   in Loop: Header=BB3_119 Depth=2
	global_load_dwordx2 v[14:15], v35, s[0:1]
	s_add_i32 s25, s24, -8
	s_add_u32 s0, s0, 8
	s_addc_u32 s1, s1, 0
.LBB3_134:                              ;   in Loop: Header=BB3_119 Depth=2
	s_cmp_gt_u32 s25, 7
	s_cbranch_scc1 .LBB3_138
; %bb.135:                              ;   in Loop: Header=BB3_119 Depth=2
	s_cmp_eq_u32 s25, 0
	s_cbranch_scc1 .LBB3_139
; %bb.136:                              ;   in Loop: Header=BB3_119 Depth=2
	s_mov_b64 s[20:21], 0
	v_pk_mov_b32 v[16:17], 0, 0
	s_mov_b64 s[22:23], 0
.LBB3_137:                              ;   Parent Loop BB3_5 Depth=1
                                        ;     Parent Loop BB3_119 Depth=2
                                        ; =>    This Inner Loop Header: Depth=3
	s_add_u32 s26, s0, s22
	s_addc_u32 s27, s1, s23
	global_load_ubyte v1, v35, s[26:27]
	s_add_u32 s22, s22, 1
	s_addc_u32 s23, s23, 0
	s_waitcnt vmcnt(0)
	v_and_b32_e32 v34, 0xffff, v1
	v_lshlrev_b64 v[4:5], s20, v[34:35]
	s_add_u32 s20, s20, 8
	s_addc_u32 s21, s21, 0
	v_or_b32_e32 v16, v4, v16
	s_cmp_lg_u32 s25, s22
	v_or_b32_e32 v17, v5, v17
	s_cbranch_scc1 .LBB3_137
	s_branch .LBB3_140
.LBB3_138:                              ;   in Loop: Header=BB3_119 Depth=2
                                        ; implicit-def: $sgpr24
	s_branch .LBB3_141
.LBB3_139:                              ;   in Loop: Header=BB3_119 Depth=2
	v_pk_mov_b32 v[16:17], 0, 0
.LBB3_140:                              ;   in Loop: Header=BB3_119 Depth=2
	s_mov_b32 s24, 0
	s_cbranch_execnz .LBB3_142
.LBB3_141:                              ;   in Loop: Header=BB3_119 Depth=2
	global_load_dwordx2 v[16:17], v35, s[0:1]
	s_add_i32 s24, s25, -8
	s_add_u32 s0, s0, 8
	s_addc_u32 s1, s1, 0
.LBB3_142:                              ;   in Loop: Header=BB3_119 Depth=2
	s_cmp_gt_u32 s24, 7
	s_cbranch_scc1 .LBB3_146
; %bb.143:                              ;   in Loop: Header=BB3_119 Depth=2
	s_cmp_eq_u32 s24, 0
	s_cbranch_scc1 .LBB3_147
; %bb.144:                              ;   in Loop: Header=BB3_119 Depth=2
	s_mov_b64 s[20:21], 0
	v_pk_mov_b32 v[18:19], 0, 0
	s_mov_b64 s[22:23], 0
.LBB3_145:                              ;   Parent Loop BB3_5 Depth=1
                                        ;     Parent Loop BB3_119 Depth=2
                                        ; =>    This Inner Loop Header: Depth=3
	s_add_u32 s26, s0, s22
	s_addc_u32 s27, s1, s23
	global_load_ubyte v1, v35, s[26:27]
	s_add_u32 s22, s22, 1
	s_addc_u32 s23, s23, 0
	s_waitcnt vmcnt(0)
	v_and_b32_e32 v34, 0xffff, v1
	v_lshlrev_b64 v[4:5], s20, v[34:35]
	s_add_u32 s20, s20, 8
	s_addc_u32 s21, s21, 0
	v_or_b32_e32 v18, v4, v18
	s_cmp_lg_u32 s24, s22
	v_or_b32_e32 v19, v5, v19
	s_cbranch_scc1 .LBB3_145
	s_branch .LBB3_148
.LBB3_146:                              ;   in Loop: Header=BB3_119 Depth=2
                                        ; implicit-def: $vgpr18_vgpr19
                                        ; implicit-def: $sgpr25
	s_branch .LBB3_149
.LBB3_147:                              ;   in Loop: Header=BB3_119 Depth=2
	v_pk_mov_b32 v[18:19], 0, 0
.LBB3_148:                              ;   in Loop: Header=BB3_119 Depth=2
	s_mov_b32 s25, 0
	s_cbranch_execnz .LBB3_150
.LBB3_149:                              ;   in Loop: Header=BB3_119 Depth=2
	global_load_dwordx2 v[18:19], v35, s[0:1]
	s_add_i32 s25, s24, -8
	s_add_u32 s0, s0, 8
	s_addc_u32 s1, s1, 0
.LBB3_150:                              ;   in Loop: Header=BB3_119 Depth=2
	s_cmp_gt_u32 s25, 7
	s_cbranch_scc1 .LBB3_154
; %bb.151:                              ;   in Loop: Header=BB3_119 Depth=2
	s_cmp_eq_u32 s25, 0
	s_cbranch_scc1 .LBB3_155
; %bb.152:                              ;   in Loop: Header=BB3_119 Depth=2
	s_mov_b64 s[20:21], 0
	v_pk_mov_b32 v[20:21], 0, 0
	s_mov_b64 s[22:23], 0
.LBB3_153:                              ;   Parent Loop BB3_5 Depth=1
                                        ;     Parent Loop BB3_119 Depth=2
                                        ; =>    This Inner Loop Header: Depth=3
	s_add_u32 s26, s0, s22
	s_addc_u32 s27, s1, s23
	global_load_ubyte v1, v35, s[26:27]
	s_add_u32 s22, s22, 1
	s_addc_u32 s23, s23, 0
	s_waitcnt vmcnt(0)
	v_and_b32_e32 v34, 0xffff, v1
	v_lshlrev_b64 v[4:5], s20, v[34:35]
	s_add_u32 s20, s20, 8
	s_addc_u32 s21, s21, 0
	v_or_b32_e32 v20, v4, v20
	s_cmp_lg_u32 s25, s22
	v_or_b32_e32 v21, v5, v21
	s_cbranch_scc1 .LBB3_153
	s_branch .LBB3_156
.LBB3_154:                              ;   in Loop: Header=BB3_119 Depth=2
                                        ; implicit-def: $sgpr24
	s_branch .LBB3_157
.LBB3_155:                              ;   in Loop: Header=BB3_119 Depth=2
	v_pk_mov_b32 v[20:21], 0, 0
.LBB3_156:                              ;   in Loop: Header=BB3_119 Depth=2
	s_mov_b32 s24, 0
	s_cbranch_execnz .LBB3_158
.LBB3_157:                              ;   in Loop: Header=BB3_119 Depth=2
	global_load_dwordx2 v[20:21], v35, s[0:1]
	s_add_i32 s24, s25, -8
	s_add_u32 s0, s0, 8
	s_addc_u32 s1, s1, 0
.LBB3_158:                              ;   in Loop: Header=BB3_119 Depth=2
	s_cmp_gt_u32 s24, 7
	s_cbranch_scc1 .LBB3_162
; %bb.159:                              ;   in Loop: Header=BB3_119 Depth=2
	s_cmp_eq_u32 s24, 0
	s_cbranch_scc1 .LBB3_163
; %bb.160:                              ;   in Loop: Header=BB3_119 Depth=2
	s_mov_b64 s[20:21], 0
	v_pk_mov_b32 v[22:23], 0, 0
	s_mov_b64 s[22:23], 0
.LBB3_161:                              ;   Parent Loop BB3_5 Depth=1
                                        ;     Parent Loop BB3_119 Depth=2
                                        ; =>    This Inner Loop Header: Depth=3
	s_add_u32 s26, s0, s22
	s_addc_u32 s27, s1, s23
	global_load_ubyte v1, v35, s[26:27]
	s_add_u32 s22, s22, 1
	s_addc_u32 s23, s23, 0
	s_waitcnt vmcnt(0)
	v_and_b32_e32 v34, 0xffff, v1
	v_lshlrev_b64 v[4:5], s20, v[34:35]
	s_add_u32 s20, s20, 8
	s_addc_u32 s21, s21, 0
	v_or_b32_e32 v22, v4, v22
	s_cmp_lg_u32 s24, s22
	v_or_b32_e32 v23, v5, v23
	s_cbranch_scc1 .LBB3_161
	s_branch .LBB3_164
.LBB3_162:                              ;   in Loop: Header=BB3_119 Depth=2
                                        ; implicit-def: $vgpr22_vgpr23
                                        ; implicit-def: $sgpr25
	s_branch .LBB3_165
.LBB3_163:                              ;   in Loop: Header=BB3_119 Depth=2
	v_pk_mov_b32 v[22:23], 0, 0
.LBB3_164:                              ;   in Loop: Header=BB3_119 Depth=2
	s_mov_b32 s25, 0
	s_cbranch_execnz .LBB3_166
.LBB3_165:                              ;   in Loop: Header=BB3_119 Depth=2
	global_load_dwordx2 v[22:23], v35, s[0:1]
	s_add_i32 s25, s24, -8
	s_add_u32 s0, s0, 8
	s_addc_u32 s1, s1, 0
.LBB3_166:                              ;   in Loop: Header=BB3_119 Depth=2
	s_cmp_gt_u32 s25, 7
	s_cbranch_scc1 .LBB3_170
; %bb.167:                              ;   in Loop: Header=BB3_119 Depth=2
	s_cmp_eq_u32 s25, 0
	s_cbranch_scc1 .LBB3_171
; %bb.168:                              ;   in Loop: Header=BB3_119 Depth=2
	s_mov_b64 s[20:21], 0
	v_pk_mov_b32 v[24:25], 0, 0
	s_mov_b64 s[22:23], s[0:1]
.LBB3_169:                              ;   Parent Loop BB3_5 Depth=1
                                        ;     Parent Loop BB3_119 Depth=2
                                        ; =>    This Inner Loop Header: Depth=3
	global_load_ubyte v1, v35, s[22:23]
	s_add_i32 s25, s25, -1
	s_waitcnt vmcnt(0)
	v_and_b32_e32 v34, 0xffff, v1
	v_lshlrev_b64 v[4:5], s20, v[34:35]
	s_add_u32 s20, s20, 8
	s_addc_u32 s21, s21, 0
	s_add_u32 s22, s22, 1
	s_addc_u32 s23, s23, 0
	v_or_b32_e32 v24, v4, v24
	s_cmp_lg_u32 s25, 0
	v_or_b32_e32 v25, v5, v25
	s_cbranch_scc1 .LBB3_169
	s_branch .LBB3_172
.LBB3_170:                              ;   in Loop: Header=BB3_119 Depth=2
	s_branch .LBB3_173
.LBB3_171:                              ;   in Loop: Header=BB3_119 Depth=2
	v_pk_mov_b32 v[24:25], 0, 0
.LBB3_172:                              ;   in Loop: Header=BB3_119 Depth=2
	s_cbranch_execnz .LBB3_174
.LBB3_173:                              ;   in Loop: Header=BB3_119 Depth=2
	global_load_dwordx2 v[24:25], v35, s[0:1]
.LBB3_174:                              ;   in Loop: Header=BB3_119 Depth=2
	v_readfirstlane_b32 s0, v32
	v_cmp_eq_u32_e64 s[0:1], s0, v32
	v_pk_mov_b32 v[4:5], 0, 0
	s_and_saveexec_b64 s[20:21], s[0:1]
	s_cbranch_execz .LBB3_180
; %bb.175:                              ;   in Loop: Header=BB3_119 Depth=2
	global_load_dwordx2 v[28:29], v35, s[2:3] offset:24 glc
	s_waitcnt vmcnt(0)
	buffer_invl2
	buffer_wbinvl1_vol
	global_load_dwordx2 v[4:5], v35, s[2:3] offset:40
	global_load_dwordx2 v[26:27], v35, s[2:3]
	s_waitcnt vmcnt(1)
	v_and_b32_e32 v1, v4, v28
	v_and_b32_e32 v2, v5, v29
	v_mul_lo_u32 v2, v2, 24
	v_mul_hi_u32 v4, v1, 24
	v_mul_lo_u32 v1, v1, 24
	v_add_u32_e32 v2, v4, v2
	s_waitcnt vmcnt(0)
	v_add_co_u32_e32 v4, vcc, v26, v1
	v_addc_co_u32_e32 v5, vcc, v27, v2, vcc
	global_load_dwordx2 v[26:27], v[4:5], off glc
	s_waitcnt vmcnt(0)
	global_atomic_cmpswap_x2 v[4:5], v35, v[26:29], s[2:3] offset:24 glc
	s_waitcnt vmcnt(0)
	buffer_invl2
	buffer_wbinvl1_vol
	v_cmp_ne_u64_e32 vcc, v[4:5], v[28:29]
	s_and_saveexec_b64 s[22:23], vcc
	s_cbranch_execz .LBB3_179
; %bb.176:                              ;   in Loop: Header=BB3_119 Depth=2
	s_mov_b64 s[24:25], 0
.LBB3_177:                              ;   Parent Loop BB3_5 Depth=1
                                        ;     Parent Loop BB3_119 Depth=2
                                        ; =>    This Inner Loop Header: Depth=3
	s_sleep 1
	global_load_dwordx2 v[26:27], v35, s[2:3] offset:40
	global_load_dwordx2 v[38:39], v35, s[2:3]
	v_pk_mov_b32 v[28:29], v[4:5], v[4:5] op_sel:[0,1]
	s_waitcnt vmcnt(1)
	v_and_b32_e32 v2, v26, v28
	s_waitcnt vmcnt(0)
	v_mad_u64_u32 v[4:5], s[26:27], v2, 24, v[38:39]
	v_and_b32_e32 v1, v27, v29
	v_mov_b32_e32 v2, v5
	v_mad_u64_u32 v[26:27], s[26:27], v1, 24, v[2:3]
	v_mov_b32_e32 v5, v26
	global_load_dwordx2 v[26:27], v[4:5], off glc
	s_waitcnt vmcnt(0)
	global_atomic_cmpswap_x2 v[4:5], v35, v[26:29], s[2:3] offset:24 glc
	s_waitcnt vmcnt(0)
	buffer_invl2
	buffer_wbinvl1_vol
	v_cmp_eq_u64_e32 vcc, v[4:5], v[28:29]
	s_or_b64 s[24:25], vcc, s[24:25]
	s_andn2_b64 exec, exec, s[24:25]
	s_cbranch_execnz .LBB3_177
; %bb.178:                              ;   in Loop: Header=BB3_119 Depth=2
	s_or_b64 exec, exec, s[24:25]
.LBB3_179:                              ;   in Loop: Header=BB3_119 Depth=2
	s_or_b64 exec, exec, s[22:23]
.LBB3_180:                              ;   in Loop: Header=BB3_119 Depth=2
	s_or_b64 exec, exec, s[20:21]
	global_load_dwordx2 v[38:39], v35, s[2:3] offset:40
	global_load_dwordx4 v[26:29], v35, s[2:3]
	v_readfirstlane_b32 s20, v4
	v_readfirstlane_b32 s21, v5
	s_mov_b64 s[22:23], exec
	s_waitcnt vmcnt(1)
	v_readfirstlane_b32 s24, v38
	v_readfirstlane_b32 s25, v39
	s_and_b64 s[24:25], s[20:21], s[24:25]
	s_mul_i32 s26, s25, 24
	s_mul_hi_u32 s27, s24, 24
	s_mul_i32 s33, s24, 24
	s_add_i32 s26, s27, s26
	v_mov_b32_e32 v1, s26
	s_waitcnt vmcnt(0)
	v_add_co_u32_e32 v38, vcc, s33, v26
	v_addc_co_u32_e32 v39, vcc, v27, v1, vcc
	s_and_saveexec_b64 s[26:27], s[0:1]
	s_cbranch_execz .LBB3_182
; %bb.181:                              ;   in Loop: Header=BB3_119 Depth=2
	v_pk_mov_b32 v[4:5], s[22:23], s[22:23] op_sel:[0,1]
	global_store_dwordx4 v[38:39], v[4:7], off offset:8
.LBB3_182:                              ;   in Loop: Header=BB3_119 Depth=2
	s_or_b64 exec, exec, s[26:27]
	s_lshl_b64 s[22:23], s[24:25], 12
	v_mov_b32_e32 v1, s23
	v_add_co_u32_e32 v4, vcc, s22, v28
	v_addc_co_u32_e32 v1, vcc, v29, v1, vcc
	v_or_b32_e32 v2, 0, v11
	v_or_b32_e32 v5, v10, v36
	v_cmp_gt_u64_e64 vcc, s[16:17], 56
	s_lshl_b32 s22, s18, 2
	v_cndmask_b32_e32 v11, v2, v11, vcc
	v_cndmask_b32_e32 v2, v5, v10, vcc
	s_add_i32 s22, s22, 28
	s_and_b32 s22, s22, 0x1e0
	v_and_b32_e32 v2, 0xffffff1f, v2
	v_or_b32_e32 v10, s22, v2
	v_readfirstlane_b32 s22, v4
	v_readfirstlane_b32 s23, v1
	s_nop 4
	global_store_dwordx4 v46, v[10:13], s[22:23]
	global_store_dwordx4 v46, v[14:17], s[22:23] offset:16
	global_store_dwordx4 v46, v[18:21], s[22:23] offset:32
	;; [unrolled: 1-line block ×3, first 2 shown]
	s_and_saveexec_b64 s[22:23], s[0:1]
	s_cbranch_execz .LBB3_190
; %bb.183:                              ;   in Loop: Header=BB3_119 Depth=2
	global_load_dwordx2 v[18:19], v35, s[2:3] offset:32 glc
	global_load_dwordx2 v[10:11], v35, s[2:3] offset:40
	v_mov_b32_e32 v16, s20
	v_mov_b32_e32 v17, s21
	s_waitcnt vmcnt(0)
	v_readfirstlane_b32 s24, v10
	v_readfirstlane_b32 s25, v11
	s_and_b64 s[24:25], s[24:25], s[20:21]
	s_mul_i32 s25, s25, 24
	s_mul_hi_u32 s26, s24, 24
	s_mul_i32 s24, s24, 24
	s_add_i32 s25, s26, s25
	v_mov_b32_e32 v2, s25
	v_add_co_u32_e32 v14, vcc, s24, v26
	v_addc_co_u32_e32 v15, vcc, v27, v2, vcc
	global_store_dwordx2 v[14:15], v[18:19], off
	buffer_wbl2
	s_waitcnt vmcnt(0)
	global_atomic_cmpswap_x2 v[12:13], v35, v[16:19], s[2:3] offset:32 glc
	s_waitcnt vmcnt(0)
	v_cmp_ne_u64_e32 vcc, v[12:13], v[18:19]
	s_and_saveexec_b64 s[24:25], vcc
	s_cbranch_execz .LBB3_186
; %bb.184:                              ;   in Loop: Header=BB3_119 Depth=2
	s_mov_b64 s[26:27], 0
.LBB3_185:                              ;   Parent Loop BB3_5 Depth=1
                                        ;     Parent Loop BB3_119 Depth=2
                                        ; =>    This Inner Loop Header: Depth=3
	s_sleep 1
	global_store_dwordx2 v[14:15], v[12:13], off
	v_mov_b32_e32 v10, s20
	v_mov_b32_e32 v11, s21
	buffer_wbl2
	s_waitcnt vmcnt(0)
	global_atomic_cmpswap_x2 v[10:11], v35, v[10:13], s[2:3] offset:32 glc
	s_waitcnt vmcnt(0)
	v_cmp_eq_u64_e32 vcc, v[10:11], v[12:13]
	s_or_b64 s[26:27], vcc, s[26:27]
	v_pk_mov_b32 v[12:13], v[10:11], v[10:11] op_sel:[0,1]
	s_andn2_b64 exec, exec, s[26:27]
	s_cbranch_execnz .LBB3_185
.LBB3_186:                              ;   in Loop: Header=BB3_119 Depth=2
	s_or_b64 exec, exec, s[24:25]
	global_load_dwordx2 v[10:11], v35, s[2:3] offset:16
	s_mov_b64 s[26:27], exec
	v_mbcnt_lo_u32_b32 v2, s26, 0
	v_mbcnt_hi_u32_b32 v2, s27, v2
	v_cmp_eq_u32_e32 vcc, 0, v2
	s_and_saveexec_b64 s[24:25], vcc
	s_cbranch_execz .LBB3_188
; %bb.187:                              ;   in Loop: Header=BB3_119 Depth=2
	s_bcnt1_i32_b64 s26, s[26:27]
	v_mov_b32_e32 v2, s26
	buffer_wbl2
	s_waitcnt vmcnt(0)
	global_atomic_add_x2 v[10:11], v[2:3], off offset:8
.LBB3_188:                              ;   in Loop: Header=BB3_119 Depth=2
	s_or_b64 exec, exec, s[24:25]
	s_waitcnt vmcnt(0)
	global_load_dwordx2 v[12:13], v[10:11], off offset:16
	s_waitcnt vmcnt(0)
	v_cmp_eq_u64_e32 vcc, 0, v[12:13]
	s_cbranch_vccnz .LBB3_190
; %bb.189:                              ;   in Loop: Header=BB3_119 Depth=2
	global_load_dword v34, v[10:11], off offset:24
	s_waitcnt vmcnt(0)
	v_and_b32_e32 v2, 0xffffff, v34
	v_readfirstlane_b32 m0, v2
	buffer_wbl2
	global_store_dwordx2 v[12:13], v[34:35], off
	s_sendmsg sendmsg(MSG_INTERRUPT)
.LBB3_190:                              ;   in Loop: Header=BB3_119 Depth=2
	s_or_b64 exec, exec, s[22:23]
	v_add_co_u32_e32 v4, vcc, v4, v46
	v_addc_co_u32_e32 v5, vcc, 0, v1, vcc
	s_branch .LBB3_194
.LBB3_191:                              ;   in Loop: Header=BB3_194 Depth=3
	s_or_b64 exec, exec, s[22:23]
	v_readfirstlane_b32 s22, v1
	s_cmp_eq_u32 s22, 0
	s_cbranch_scc1 .LBB3_193
; %bb.192:                              ;   in Loop: Header=BB3_194 Depth=3
	s_sleep 1
	s_cbranch_execnz .LBB3_194
	s_branch .LBB3_196
.LBB3_193:                              ;   in Loop: Header=BB3_119 Depth=2
	s_branch .LBB3_196
.LBB3_194:                              ;   Parent Loop BB3_5 Depth=1
                                        ;     Parent Loop BB3_119 Depth=2
                                        ; =>    This Inner Loop Header: Depth=3
	v_mov_b32_e32 v1, 1
	s_and_saveexec_b64 s[22:23], s[0:1]
	s_cbranch_execz .LBB3_191
; %bb.195:                              ;   in Loop: Header=BB3_194 Depth=3
	global_load_dword v1, v[38:39], off offset:20 glc
	s_waitcnt vmcnt(0)
	buffer_invl2
	buffer_wbinvl1_vol
	v_and_b32_e32 v1, 1, v1
	s_branch .LBB3_191
.LBB3_196:                              ;   in Loop: Header=BB3_119 Depth=2
	global_load_dwordx4 v[10:13], v[4:5], off
	s_and_saveexec_b64 s[22:23], s[0:1]
	s_cbranch_execz .LBB3_118
; %bb.197:                              ;   in Loop: Header=BB3_119 Depth=2
	global_load_dwordx2 v[4:5], v35, s[2:3] offset:40
	global_load_dwordx2 v[16:17], v35, s[2:3] offset:24 glc
	global_load_dwordx2 v[18:19], v35, s[2:3]
	v_mov_b32_e32 v1, s21
	s_waitcnt vmcnt(2)
	v_add_co_u32_e32 v2, vcc, 1, v4
	v_addc_co_u32_e32 v15, vcc, 0, v5, vcc
	v_add_co_u32_e32 v12, vcc, s20, v2
	v_addc_co_u32_e32 v13, vcc, v15, v1, vcc
	v_cmp_eq_u64_e32 vcc, 0, v[12:13]
	v_cndmask_b32_e32 v13, v13, v15, vcc
	v_cndmask_b32_e32 v12, v12, v2, vcc
	v_and_b32_e32 v1, v13, v5
	v_and_b32_e32 v2, v12, v4
	v_mul_lo_u32 v1, v1, 24
	v_mul_hi_u32 v4, v2, 24
	v_mul_lo_u32 v2, v2, 24
	v_add_u32_e32 v1, v4, v1
	s_waitcnt vmcnt(0)
	v_add_co_u32_e32 v4, vcc, v18, v2
	v_addc_co_u32_e32 v5, vcc, v19, v1, vcc
	v_mov_b32_e32 v14, v16
	global_store_dwordx2 v[4:5], v[16:17], off
	v_mov_b32_e32 v15, v17
	buffer_wbl2
	s_waitcnt vmcnt(0)
	global_atomic_cmpswap_x2 v[14:15], v35, v[12:15], s[2:3] offset:24 glc
	s_waitcnt vmcnt(0)
	v_cmp_ne_u64_e32 vcc, v[14:15], v[16:17]
	s_and_b64 exec, exec, vcc
	s_cbranch_execz .LBB3_118
; %bb.198:                              ;   in Loop: Header=BB3_119 Depth=2
	s_mov_b64 s[0:1], 0
.LBB3_199:                              ;   Parent Loop BB3_5 Depth=1
                                        ;     Parent Loop BB3_119 Depth=2
                                        ; =>    This Inner Loop Header: Depth=3
	s_sleep 1
	global_store_dwordx2 v[4:5], v[14:15], off
	buffer_wbl2
	s_waitcnt vmcnt(0)
	global_atomic_cmpswap_x2 v[16:17], v35, v[12:15], s[2:3] offset:24 glc
	s_waitcnt vmcnt(0)
	v_cmp_eq_u64_e32 vcc, v[16:17], v[14:15]
	s_or_b64 s[0:1], vcc, s[0:1]
	v_pk_mov_b32 v[14:15], v[16:17], v[16:17] op_sel:[0,1]
	s_andn2_b64 exec, exec, s[0:1]
	s_cbranch_execnz .LBB3_199
	s_branch .LBB3_118
.LBB3_200:                              ;   in Loop: Header=BB3_5 Depth=1
	s_branch .LBB3_257
.LBB3_201:                              ;   in Loop: Header=BB3_5 Depth=1
                                        ; implicit-def: $vgpr8_vgpr9
	s_cbranch_execz .LBB3_116
; %bb.202:                              ;   in Loop: Header=BB3_5 Depth=1
	v_readfirstlane_b32 s0, v32
	v_cmp_eq_u32_e64 s[0:1], s0, v32
	v_pk_mov_b32 v[4:5], 0, 0
	s_and_saveexec_b64 s[14:15], s[0:1]
	s_cbranch_execz .LBB3_208
; %bb.203:                              ;   in Loop: Header=BB3_5 Depth=1
	global_load_dwordx2 v[10:11], v35, s[2:3] offset:24 glc
	s_waitcnt vmcnt(0)
	buffer_invl2
	buffer_wbinvl1_vol
	global_load_dwordx2 v[4:5], v35, s[2:3] offset:40
	global_load_dwordx2 v[8:9], v35, s[2:3]
	s_waitcnt vmcnt(1)
	v_and_b32_e32 v1, v4, v10
	v_and_b32_e32 v2, v5, v11
	v_mul_lo_u32 v2, v2, 24
	v_mul_hi_u32 v4, v1, 24
	v_mul_lo_u32 v1, v1, 24
	v_add_u32_e32 v2, v4, v2
	s_waitcnt vmcnt(0)
	v_add_co_u32_e32 v4, vcc, v8, v1
	v_addc_co_u32_e32 v5, vcc, v9, v2, vcc
	global_load_dwordx2 v[8:9], v[4:5], off glc
	s_waitcnt vmcnt(0)
	global_atomic_cmpswap_x2 v[4:5], v35, v[8:11], s[2:3] offset:24 glc
	s_waitcnt vmcnt(0)
	buffer_invl2
	buffer_wbinvl1_vol
	v_cmp_ne_u64_e32 vcc, v[4:5], v[10:11]
	s_and_saveexec_b64 s[16:17], vcc
	s_cbranch_execz .LBB3_207
; %bb.204:                              ;   in Loop: Header=BB3_5 Depth=1
	s_mov_b64 s[18:19], 0
.LBB3_205:                              ;   Parent Loop BB3_5 Depth=1
                                        ; =>  This Inner Loop Header: Depth=2
	s_sleep 1
	global_load_dwordx2 v[8:9], v35, s[2:3] offset:40
	global_load_dwordx2 v[14:15], v35, s[2:3]
	v_pk_mov_b32 v[10:11], v[4:5], v[4:5] op_sel:[0,1]
	s_waitcnt vmcnt(1)
	v_and_b32_e32 v2, v8, v10
	s_waitcnt vmcnt(0)
	v_mad_u64_u32 v[4:5], s[20:21], v2, 24, v[14:15]
	v_and_b32_e32 v1, v9, v11
	v_mov_b32_e32 v2, v5
	v_mad_u64_u32 v[8:9], s[20:21], v1, 24, v[2:3]
	v_mov_b32_e32 v5, v8
	global_load_dwordx2 v[8:9], v[4:5], off glc
	s_waitcnt vmcnt(0)
	global_atomic_cmpswap_x2 v[4:5], v35, v[8:11], s[2:3] offset:24 glc
	s_waitcnt vmcnt(0)
	buffer_invl2
	buffer_wbinvl1_vol
	v_cmp_eq_u64_e32 vcc, v[4:5], v[10:11]
	s_or_b64 s[18:19], vcc, s[18:19]
	s_andn2_b64 exec, exec, s[18:19]
	s_cbranch_execnz .LBB3_205
; %bb.206:                              ;   in Loop: Header=BB3_5 Depth=1
	s_or_b64 exec, exec, s[18:19]
.LBB3_207:                              ;   in Loop: Header=BB3_5 Depth=1
	s_or_b64 exec, exec, s[16:17]
.LBB3_208:                              ;   in Loop: Header=BB3_5 Depth=1
	s_or_b64 exec, exec, s[14:15]
	global_load_dwordx2 v[14:15], v35, s[2:3] offset:40
	global_load_dwordx4 v[8:11], v35, s[2:3]
	v_readfirstlane_b32 s14, v4
	v_readfirstlane_b32 s15, v5
	s_mov_b64 s[16:17], exec
	s_waitcnt vmcnt(1)
	v_readfirstlane_b32 s18, v14
	v_readfirstlane_b32 s19, v15
	s_and_b64 s[18:19], s[14:15], s[18:19]
	s_mul_i32 s20, s19, 24
	s_mul_hi_u32 s21, s18, 24
	s_mul_i32 s22, s18, 24
	s_add_i32 s20, s21, s20
	v_mov_b32_e32 v1, s20
	s_waitcnt vmcnt(0)
	v_add_co_u32_e32 v16, vcc, s22, v8
	v_addc_co_u32_e32 v17, vcc, v9, v1, vcc
	s_and_saveexec_b64 s[20:21], s[0:1]
	s_cbranch_execz .LBB3_210
; %bb.209:                              ;   in Loop: Header=BB3_5 Depth=1
	v_pk_mov_b32 v[4:5], s[16:17], s[16:17] op_sel:[0,1]
	global_store_dwordx4 v[16:17], v[4:7], off offset:8
.LBB3_210:                              ;   in Loop: Header=BB3_5 Depth=1
	s_or_b64 exec, exec, s[20:21]
	s_lshl_b64 s[16:17], s[18:19], 12
	v_mov_b32_e32 v1, s17
	v_add_co_u32_e32 v4, vcc, s16, v10
	v_addc_co_u32_e32 v1, vcc, v11, v1, vcc
	v_and_or_b32 v12, v12, s29, 32
	v_mov_b32_e32 v14, v3
	v_mov_b32_e32 v15, v3
	v_readfirstlane_b32 s16, v4
	v_readfirstlane_b32 s17, v1
	s_nop 4
	global_store_dwordx4 v46, v[12:15], s[16:17]
	s_nop 0
	v_pk_mov_b32 v[12:13], s[10:11], s[10:11] op_sel:[0,1]
	v_pk_mov_b32 v[10:11], s[8:9], s[8:9] op_sel:[0,1]
	global_store_dwordx4 v46, v[10:13], s[16:17] offset:16
	global_store_dwordx4 v46, v[10:13], s[16:17] offset:32
	;; [unrolled: 1-line block ×3, first 2 shown]
	s_and_saveexec_b64 s[16:17], s[0:1]
	s_cbranch_execz .LBB3_218
; %bb.211:                              ;   in Loop: Header=BB3_5 Depth=1
	global_load_dwordx2 v[20:21], v35, s[2:3] offset:32 glc
	global_load_dwordx2 v[10:11], v35, s[2:3] offset:40
	v_mov_b32_e32 v18, s14
	v_mov_b32_e32 v19, s15
	s_waitcnt vmcnt(0)
	v_readfirstlane_b32 s18, v10
	v_readfirstlane_b32 s19, v11
	s_and_b64 s[18:19], s[18:19], s[14:15]
	s_mul_i32 s19, s19, 24
	s_mul_hi_u32 s20, s18, 24
	s_mul_i32 s18, s18, 24
	s_add_i32 s19, s20, s19
	v_mov_b32_e32 v2, s19
	v_add_co_u32_e32 v12, vcc, s18, v8
	v_addc_co_u32_e32 v13, vcc, v9, v2, vcc
	global_store_dwordx2 v[12:13], v[20:21], off
	buffer_wbl2
	s_waitcnt vmcnt(0)
	global_atomic_cmpswap_x2 v[10:11], v35, v[18:21], s[2:3] offset:32 glc
	s_waitcnt vmcnt(0)
	v_cmp_ne_u64_e32 vcc, v[10:11], v[20:21]
	s_and_saveexec_b64 s[18:19], vcc
	s_cbranch_execz .LBB3_214
; %bb.212:                              ;   in Loop: Header=BB3_5 Depth=1
	s_mov_b64 s[20:21], 0
.LBB3_213:                              ;   Parent Loop BB3_5 Depth=1
                                        ; =>  This Inner Loop Header: Depth=2
	s_sleep 1
	global_store_dwordx2 v[12:13], v[10:11], off
	v_mov_b32_e32 v8, s14
	v_mov_b32_e32 v9, s15
	buffer_wbl2
	s_waitcnt vmcnt(0)
	global_atomic_cmpswap_x2 v[8:9], v35, v[8:11], s[2:3] offset:32 glc
	s_waitcnt vmcnt(0)
	v_cmp_eq_u64_e32 vcc, v[8:9], v[10:11]
	s_or_b64 s[20:21], vcc, s[20:21]
	v_pk_mov_b32 v[10:11], v[8:9], v[8:9] op_sel:[0,1]
	s_andn2_b64 exec, exec, s[20:21]
	s_cbranch_execnz .LBB3_213
.LBB3_214:                              ;   in Loop: Header=BB3_5 Depth=1
	s_or_b64 exec, exec, s[18:19]
	global_load_dwordx2 v[8:9], v35, s[2:3] offset:16
	s_mov_b64 s[20:21], exec
	v_mbcnt_lo_u32_b32 v2, s20, 0
	v_mbcnt_hi_u32_b32 v2, s21, v2
	v_cmp_eq_u32_e32 vcc, 0, v2
	s_and_saveexec_b64 s[18:19], vcc
	s_cbranch_execz .LBB3_216
; %bb.215:                              ;   in Loop: Header=BB3_5 Depth=1
	s_bcnt1_i32_b64 s20, s[20:21]
	v_mov_b32_e32 v2, s20
	buffer_wbl2
	s_waitcnt vmcnt(0)
	global_atomic_add_x2 v[8:9], v[2:3], off offset:8
.LBB3_216:                              ;   in Loop: Header=BB3_5 Depth=1
	s_or_b64 exec, exec, s[18:19]
	s_waitcnt vmcnt(0)
	global_load_dwordx2 v[10:11], v[8:9], off offset:16
	s_waitcnt vmcnt(0)
	v_cmp_eq_u64_e32 vcc, 0, v[10:11]
	s_cbranch_vccnz .LBB3_218
; %bb.217:                              ;   in Loop: Header=BB3_5 Depth=1
	global_load_dword v34, v[8:9], off offset:24
	s_waitcnt vmcnt(0)
	v_and_b32_e32 v2, 0xffffff, v34
	v_readfirstlane_b32 m0, v2
	buffer_wbl2
	global_store_dwordx2 v[10:11], v[34:35], off
	s_sendmsg sendmsg(MSG_INTERRUPT)
.LBB3_218:                              ;   in Loop: Header=BB3_5 Depth=1
	s_or_b64 exec, exec, s[16:17]
	v_add_co_u32_e32 v4, vcc, v4, v46
	v_addc_co_u32_e32 v5, vcc, 0, v1, vcc
	s_branch .LBB3_222
.LBB3_219:                              ;   in Loop: Header=BB3_222 Depth=2
	s_or_b64 exec, exec, s[16:17]
	v_readfirstlane_b32 s16, v1
	s_cmp_eq_u32 s16, 0
	s_cbranch_scc1 .LBB3_221
; %bb.220:                              ;   in Loop: Header=BB3_222 Depth=2
	s_sleep 1
	s_cbranch_execnz .LBB3_222
	s_branch .LBB3_224
.LBB3_221:                              ;   in Loop: Header=BB3_5 Depth=1
	s_branch .LBB3_224
.LBB3_222:                              ;   Parent Loop BB3_5 Depth=1
                                        ; =>  This Inner Loop Header: Depth=2
	v_mov_b32_e32 v1, 1
	s_and_saveexec_b64 s[16:17], s[0:1]
	s_cbranch_execz .LBB3_219
; %bb.223:                              ;   in Loop: Header=BB3_222 Depth=2
	global_load_dword v1, v[16:17], off offset:20 glc
	s_waitcnt vmcnt(0)
	buffer_invl2
	buffer_wbinvl1_vol
	v_and_b32_e32 v1, 1, v1
	s_branch .LBB3_219
.LBB3_224:                              ;   in Loop: Header=BB3_5 Depth=1
	global_load_dwordx2 v[8:9], v[4:5], off
	s_and_saveexec_b64 s[16:17], s[0:1]
	s_cbranch_execz .LBB3_228
; %bb.225:                              ;   in Loop: Header=BB3_5 Depth=1
	global_load_dwordx2 v[4:5], v35, s[2:3] offset:40
	global_load_dwordx2 v[14:15], v35, s[2:3] offset:24 glc
	global_load_dwordx2 v[16:17], v35, s[2:3]
	v_mov_b32_e32 v1, s15
	s_waitcnt vmcnt(2)
	v_add_co_u32_e32 v2, vcc, 1, v4
	v_addc_co_u32_e32 v13, vcc, 0, v5, vcc
	v_add_co_u32_e32 v10, vcc, s14, v2
	v_addc_co_u32_e32 v11, vcc, v13, v1, vcc
	v_cmp_eq_u64_e32 vcc, 0, v[10:11]
	v_cndmask_b32_e32 v11, v11, v13, vcc
	v_cndmask_b32_e32 v10, v10, v2, vcc
	v_and_b32_e32 v1, v11, v5
	v_and_b32_e32 v2, v10, v4
	v_mul_lo_u32 v1, v1, 24
	v_mul_hi_u32 v4, v2, 24
	v_mul_lo_u32 v2, v2, 24
	v_add_u32_e32 v1, v4, v1
	s_waitcnt vmcnt(0)
	v_add_co_u32_e32 v4, vcc, v16, v2
	v_addc_co_u32_e32 v5, vcc, v17, v1, vcc
	v_mov_b32_e32 v12, v14
	global_store_dwordx2 v[4:5], v[14:15], off
	v_mov_b32_e32 v13, v15
	buffer_wbl2
	s_waitcnt vmcnt(0)
	global_atomic_cmpswap_x2 v[12:13], v35, v[10:13], s[2:3] offset:24 glc
	s_waitcnt vmcnt(0)
	v_cmp_ne_u64_e32 vcc, v[12:13], v[14:15]
	s_and_b64 exec, exec, vcc
	s_cbranch_execz .LBB3_228
; %bb.226:                              ;   in Loop: Header=BB3_5 Depth=1
	s_mov_b64 s[0:1], 0
.LBB3_227:                              ;   Parent Loop BB3_5 Depth=1
                                        ; =>  This Inner Loop Header: Depth=2
	s_sleep 1
	global_store_dwordx2 v[4:5], v[12:13], off
	buffer_wbl2
	s_waitcnt vmcnt(0)
	global_atomic_cmpswap_x2 v[14:15], v35, v[10:13], s[2:3] offset:24 glc
	s_waitcnt vmcnt(0)
	v_cmp_eq_u64_e32 vcc, v[14:15], v[12:13]
	s_or_b64 s[0:1], vcc, s[0:1]
	v_pk_mov_b32 v[12:13], v[14:15], v[14:15] op_sel:[0,1]
	s_andn2_b64 exec, exec, s[0:1]
	s_cbranch_execnz .LBB3_227
.LBB3_228:                              ;   in Loop: Header=BB3_5 Depth=1
	s_or_b64 exec, exec, s[16:17]
	s_and_b64 vcc, exec, s[12:13]
	s_cbranch_vccnz .LBB3_117
.LBB3_229:                              ;   in Loop: Header=BB3_5 Depth=1
                                        ; implicit-def: $vgpr10_vgpr11
	s_cbranch_execz .LBB3_257
; %bb.230:                              ;   in Loop: Header=BB3_5 Depth=1
	v_readfirstlane_b32 s0, v32
	v_cmp_eq_u32_e64 s[0:1], s0, v32
	v_pk_mov_b32 v[4:5], 0, 0
	s_and_saveexec_b64 s[14:15], s[0:1]
	s_cbranch_execz .LBB3_236
; %bb.231:                              ;   in Loop: Header=BB3_5 Depth=1
	global_load_dwordx2 v[12:13], v35, s[2:3] offset:24 glc
	s_waitcnt vmcnt(0)
	buffer_invl2
	buffer_wbinvl1_vol
	global_load_dwordx2 v[4:5], v35, s[2:3] offset:40
	global_load_dwordx2 v[10:11], v35, s[2:3]
	s_waitcnt vmcnt(1)
	v_and_b32_e32 v1, v4, v12
	v_and_b32_e32 v2, v5, v13
	v_mul_lo_u32 v2, v2, 24
	v_mul_hi_u32 v4, v1, 24
	v_mul_lo_u32 v1, v1, 24
	v_add_u32_e32 v2, v4, v2
	s_waitcnt vmcnt(0)
	v_add_co_u32_e32 v4, vcc, v10, v1
	v_addc_co_u32_e32 v5, vcc, v11, v2, vcc
	global_load_dwordx2 v[10:11], v[4:5], off glc
	s_waitcnt vmcnt(0)
	global_atomic_cmpswap_x2 v[4:5], v35, v[10:13], s[2:3] offset:24 glc
	s_waitcnt vmcnt(0)
	buffer_invl2
	buffer_wbinvl1_vol
	v_cmp_ne_u64_e32 vcc, v[4:5], v[12:13]
	s_and_saveexec_b64 s[16:17], vcc
	s_cbranch_execz .LBB3_235
; %bb.232:                              ;   in Loop: Header=BB3_5 Depth=1
	s_mov_b64 s[18:19], 0
.LBB3_233:                              ;   Parent Loop BB3_5 Depth=1
                                        ; =>  This Inner Loop Header: Depth=2
	s_sleep 1
	global_load_dwordx2 v[10:11], v35, s[2:3] offset:40
	global_load_dwordx2 v[14:15], v35, s[2:3]
	v_pk_mov_b32 v[12:13], v[4:5], v[4:5] op_sel:[0,1]
	s_waitcnt vmcnt(1)
	v_and_b32_e32 v2, v10, v12
	s_waitcnt vmcnt(0)
	v_mad_u64_u32 v[4:5], s[20:21], v2, 24, v[14:15]
	v_and_b32_e32 v1, v11, v13
	v_mov_b32_e32 v2, v5
	v_mad_u64_u32 v[10:11], s[20:21], v1, 24, v[2:3]
	v_mov_b32_e32 v5, v10
	global_load_dwordx2 v[10:11], v[4:5], off glc
	s_waitcnt vmcnt(0)
	global_atomic_cmpswap_x2 v[4:5], v35, v[10:13], s[2:3] offset:24 glc
	s_waitcnt vmcnt(0)
	buffer_invl2
	buffer_wbinvl1_vol
	v_cmp_eq_u64_e32 vcc, v[4:5], v[12:13]
	s_or_b64 s[18:19], vcc, s[18:19]
	s_andn2_b64 exec, exec, s[18:19]
	s_cbranch_execnz .LBB3_233
; %bb.234:                              ;   in Loop: Header=BB3_5 Depth=1
	s_or_b64 exec, exec, s[18:19]
.LBB3_235:                              ;   in Loop: Header=BB3_5 Depth=1
	s_or_b64 exec, exec, s[16:17]
.LBB3_236:                              ;   in Loop: Header=BB3_5 Depth=1
	s_or_b64 exec, exec, s[14:15]
	global_load_dwordx2 v[10:11], v35, s[2:3] offset:40
	global_load_dwordx4 v[12:15], v35, s[2:3]
	v_readfirstlane_b32 s14, v4
	v_readfirstlane_b32 s15, v5
	s_mov_b64 s[16:17], exec
	s_waitcnt vmcnt(1)
	v_readfirstlane_b32 s18, v10
	v_readfirstlane_b32 s19, v11
	s_and_b64 s[18:19], s[14:15], s[18:19]
	s_mul_i32 s20, s19, 24
	s_mul_hi_u32 s21, s18, 24
	s_mul_i32 s22, s18, 24
	s_add_i32 s20, s21, s20
	v_mov_b32_e32 v1, s20
	s_waitcnt vmcnt(0)
	v_add_co_u32_e32 v16, vcc, s22, v12
	v_addc_co_u32_e32 v17, vcc, v13, v1, vcc
	s_and_saveexec_b64 s[20:21], s[0:1]
	s_cbranch_execz .LBB3_238
; %bb.237:                              ;   in Loop: Header=BB3_5 Depth=1
	v_pk_mov_b32 v[4:5], s[16:17], s[16:17] op_sel:[0,1]
	global_store_dwordx4 v[16:17], v[4:7], off offset:8
.LBB3_238:                              ;   in Loop: Header=BB3_5 Depth=1
	s_or_b64 exec, exec, s[20:21]
	s_lshl_b64 s[16:17], s[18:19], 12
	v_mov_b32_e32 v1, s17
	v_add_co_u32_e32 v4, vcc, s16, v14
	v_addc_co_u32_e32 v1, vcc, v15, v1, vcc
	v_and_or_b32 v8, v8, s29, 32
	v_mov_b32_e32 v10, v3
	v_mov_b32_e32 v11, v3
	v_readfirstlane_b32 s16, v4
	v_readfirstlane_b32 s17, v1
	s_nop 4
	global_store_dwordx4 v46, v[8:11], s[16:17]
	s_nop 0
	v_pk_mov_b32 v[8:9], s[8:9], s[8:9] op_sel:[0,1]
	v_pk_mov_b32 v[10:11], s[10:11], s[10:11] op_sel:[0,1]
	global_store_dwordx4 v46, v[8:11], s[16:17] offset:16
	global_store_dwordx4 v46, v[8:11], s[16:17] offset:32
	;; [unrolled: 1-line block ×3, first 2 shown]
	s_and_saveexec_b64 s[16:17], s[0:1]
	s_cbranch_execz .LBB3_246
; %bb.239:                              ;   in Loop: Header=BB3_5 Depth=1
	global_load_dwordx2 v[20:21], v35, s[2:3] offset:32 glc
	global_load_dwordx2 v[8:9], v35, s[2:3] offset:40
	v_mov_b32_e32 v18, s14
	v_mov_b32_e32 v19, s15
	s_waitcnt vmcnt(0)
	v_readfirstlane_b32 s18, v8
	v_readfirstlane_b32 s19, v9
	s_and_b64 s[18:19], s[18:19], s[14:15]
	s_mul_i32 s19, s19, 24
	s_mul_hi_u32 s20, s18, 24
	s_mul_i32 s18, s18, 24
	s_add_i32 s19, s20, s19
	v_mov_b32_e32 v2, s19
	v_add_co_u32_e32 v12, vcc, s18, v12
	v_addc_co_u32_e32 v13, vcc, v13, v2, vcc
	global_store_dwordx2 v[12:13], v[20:21], off
	buffer_wbl2
	s_waitcnt vmcnt(0)
	global_atomic_cmpswap_x2 v[10:11], v35, v[18:21], s[2:3] offset:32 glc
	s_waitcnt vmcnt(0)
	v_cmp_ne_u64_e32 vcc, v[10:11], v[20:21]
	s_and_saveexec_b64 s[18:19], vcc
	s_cbranch_execz .LBB3_242
; %bb.240:                              ;   in Loop: Header=BB3_5 Depth=1
	s_mov_b64 s[20:21], 0
.LBB3_241:                              ;   Parent Loop BB3_5 Depth=1
                                        ; =>  This Inner Loop Header: Depth=2
	s_sleep 1
	global_store_dwordx2 v[12:13], v[10:11], off
	v_mov_b32_e32 v8, s14
	v_mov_b32_e32 v9, s15
	buffer_wbl2
	s_waitcnt vmcnt(0)
	global_atomic_cmpswap_x2 v[8:9], v35, v[8:11], s[2:3] offset:32 glc
	s_waitcnt vmcnt(0)
	v_cmp_eq_u64_e32 vcc, v[8:9], v[10:11]
	s_or_b64 s[20:21], vcc, s[20:21]
	v_pk_mov_b32 v[10:11], v[8:9], v[8:9] op_sel:[0,1]
	s_andn2_b64 exec, exec, s[20:21]
	s_cbranch_execnz .LBB3_241
.LBB3_242:                              ;   in Loop: Header=BB3_5 Depth=1
	s_or_b64 exec, exec, s[18:19]
	global_load_dwordx2 v[8:9], v35, s[2:3] offset:16
	s_mov_b64 s[20:21], exec
	v_mbcnt_lo_u32_b32 v2, s20, 0
	v_mbcnt_hi_u32_b32 v2, s21, v2
	v_cmp_eq_u32_e32 vcc, 0, v2
	s_and_saveexec_b64 s[18:19], vcc
	s_cbranch_execz .LBB3_244
; %bb.243:                              ;   in Loop: Header=BB3_5 Depth=1
	s_bcnt1_i32_b64 s20, s[20:21]
	v_mov_b32_e32 v2, s20
	buffer_wbl2
	s_waitcnt vmcnt(0)
	global_atomic_add_x2 v[8:9], v[2:3], off offset:8
.LBB3_244:                              ;   in Loop: Header=BB3_5 Depth=1
	s_or_b64 exec, exec, s[18:19]
	s_waitcnt vmcnt(0)
	global_load_dwordx2 v[10:11], v[8:9], off offset:16
	s_waitcnt vmcnt(0)
	v_cmp_eq_u64_e32 vcc, 0, v[10:11]
	s_cbranch_vccnz .LBB3_246
; %bb.245:                              ;   in Loop: Header=BB3_5 Depth=1
	global_load_dword v34, v[8:9], off offset:24
	s_waitcnt vmcnt(0)
	v_and_b32_e32 v2, 0xffffff, v34
	v_readfirstlane_b32 m0, v2
	buffer_wbl2
	global_store_dwordx2 v[10:11], v[34:35], off
	s_sendmsg sendmsg(MSG_INTERRUPT)
.LBB3_246:                              ;   in Loop: Header=BB3_5 Depth=1
	s_or_b64 exec, exec, s[16:17]
	v_add_co_u32_e32 v4, vcc, v4, v46
	v_addc_co_u32_e32 v5, vcc, 0, v1, vcc
	s_branch .LBB3_250
.LBB3_247:                              ;   in Loop: Header=BB3_250 Depth=2
	s_or_b64 exec, exec, s[16:17]
	v_readfirstlane_b32 s16, v1
	s_cmp_eq_u32 s16, 0
	s_cbranch_scc1 .LBB3_249
; %bb.248:                              ;   in Loop: Header=BB3_250 Depth=2
	s_sleep 1
	s_cbranch_execnz .LBB3_250
	s_branch .LBB3_252
.LBB3_249:                              ;   in Loop: Header=BB3_5 Depth=1
	s_branch .LBB3_252
.LBB3_250:                              ;   Parent Loop BB3_5 Depth=1
                                        ; =>  This Inner Loop Header: Depth=2
	v_mov_b32_e32 v1, 1
	s_and_saveexec_b64 s[16:17], s[0:1]
	s_cbranch_execz .LBB3_247
; %bb.251:                              ;   in Loop: Header=BB3_250 Depth=2
	global_load_dword v1, v[16:17], off offset:20 glc
	s_waitcnt vmcnt(0)
	buffer_invl2
	buffer_wbinvl1_vol
	v_and_b32_e32 v1, 1, v1
	s_branch .LBB3_247
.LBB3_252:                              ;   in Loop: Header=BB3_5 Depth=1
	global_load_dwordx2 v[10:11], v[4:5], off
	s_and_saveexec_b64 s[16:17], s[0:1]
	s_cbranch_execz .LBB3_256
; %bb.253:                              ;   in Loop: Header=BB3_5 Depth=1
	global_load_dwordx2 v[4:5], v35, s[2:3] offset:40
	global_load_dwordx2 v[8:9], v35, s[2:3] offset:24 glc
	global_load_dwordx2 v[16:17], v35, s[2:3]
	v_mov_b32_e32 v1, s15
	s_waitcnt vmcnt(2)
	v_add_co_u32_e32 v2, vcc, 1, v4
	v_addc_co_u32_e32 v15, vcc, 0, v5, vcc
	v_add_co_u32_e32 v12, vcc, s14, v2
	v_addc_co_u32_e32 v13, vcc, v15, v1, vcc
	v_cmp_eq_u64_e32 vcc, 0, v[12:13]
	v_cndmask_b32_e32 v13, v13, v15, vcc
	v_cndmask_b32_e32 v12, v12, v2, vcc
	v_and_b32_e32 v1, v13, v5
	v_and_b32_e32 v2, v12, v4
	v_mul_lo_u32 v1, v1, 24
	v_mul_hi_u32 v4, v2, 24
	v_mul_lo_u32 v2, v2, 24
	v_add_u32_e32 v1, v4, v1
	s_waitcnt vmcnt(0)
	v_add_co_u32_e32 v4, vcc, v16, v2
	v_addc_co_u32_e32 v5, vcc, v17, v1, vcc
	v_mov_b32_e32 v14, v8
	global_store_dwordx2 v[4:5], v[8:9], off
	v_mov_b32_e32 v15, v9
	buffer_wbl2
	s_waitcnt vmcnt(0)
	global_atomic_cmpswap_x2 v[14:15], v35, v[12:15], s[2:3] offset:24 glc
	s_waitcnt vmcnt(0)
	v_cmp_ne_u64_e32 vcc, v[14:15], v[8:9]
	s_and_b64 exec, exec, vcc
	s_cbranch_execz .LBB3_256
; %bb.254:                              ;   in Loop: Header=BB3_5 Depth=1
	s_mov_b64 s[0:1], 0
.LBB3_255:                              ;   Parent Loop BB3_5 Depth=1
                                        ; =>  This Inner Loop Header: Depth=2
	s_sleep 1
	global_store_dwordx2 v[4:5], v[14:15], off
	buffer_wbl2
	s_waitcnt vmcnt(0)
	global_atomic_cmpswap_x2 v[8:9], v35, v[12:15], s[2:3] offset:24 glc
	s_waitcnt vmcnt(0)
	v_cmp_eq_u64_e32 vcc, v[8:9], v[14:15]
	s_or_b64 s[0:1], vcc, s[0:1]
	v_pk_mov_b32 v[14:15], v[8:9], v[8:9] op_sel:[0,1]
	s_andn2_b64 exec, exec, s[0:1]
	s_cbranch_execnz .LBB3_255
.LBB3_256:                              ;   in Loop: Header=BB3_5 Depth=1
	s_or_b64 exec, exec, s[16:17]
.LBB3_257:                              ;   in Loop: Header=BB3_5 Depth=1
	v_readfirstlane_b32 s0, v32
	v_cmp_eq_u32_e64 s[0:1], s0, v32
	v_pk_mov_b32 v[4:5], 0, 0
	s_and_saveexec_b64 s[14:15], s[0:1]
	s_cbranch_execz .LBB3_263
; %bb.258:                              ;   in Loop: Header=BB3_5 Depth=1
	global_load_dwordx2 v[14:15], v35, s[2:3] offset:24 glc
	s_waitcnt vmcnt(0)
	buffer_invl2
	buffer_wbinvl1_vol
	global_load_dwordx2 v[4:5], v35, s[2:3] offset:40
	global_load_dwordx2 v[8:9], v35, s[2:3]
	s_waitcnt vmcnt(1)
	v_and_b32_e32 v1, v4, v14
	v_and_b32_e32 v2, v5, v15
	v_mul_lo_u32 v2, v2, 24
	v_mul_hi_u32 v4, v1, 24
	v_mul_lo_u32 v1, v1, 24
	v_add_u32_e32 v2, v4, v2
	s_waitcnt vmcnt(0)
	v_add_co_u32_e32 v4, vcc, v8, v1
	v_addc_co_u32_e32 v5, vcc, v9, v2, vcc
	global_load_dwordx2 v[12:13], v[4:5], off glc
	s_waitcnt vmcnt(0)
	global_atomic_cmpswap_x2 v[4:5], v35, v[12:15], s[2:3] offset:24 glc
	s_waitcnt vmcnt(0)
	buffer_invl2
	buffer_wbinvl1_vol
	v_cmp_ne_u64_e32 vcc, v[4:5], v[14:15]
	s_and_saveexec_b64 s[16:17], vcc
	s_cbranch_execz .LBB3_262
; %bb.259:                              ;   in Loop: Header=BB3_5 Depth=1
	s_mov_b64 s[18:19], 0
.LBB3_260:                              ;   Parent Loop BB3_5 Depth=1
                                        ; =>  This Inner Loop Header: Depth=2
	s_sleep 1
	global_load_dwordx2 v[8:9], v35, s[2:3] offset:40
	global_load_dwordx2 v[12:13], v35, s[2:3]
	v_pk_mov_b32 v[14:15], v[4:5], v[4:5] op_sel:[0,1]
	s_waitcnt vmcnt(1)
	v_and_b32_e32 v2, v8, v14
	s_waitcnt vmcnt(0)
	v_mad_u64_u32 v[4:5], s[20:21], v2, 24, v[12:13]
	v_and_b32_e32 v1, v9, v15
	v_mov_b32_e32 v2, v5
	v_mad_u64_u32 v[8:9], s[20:21], v1, 24, v[2:3]
	v_mov_b32_e32 v5, v8
	global_load_dwordx2 v[12:13], v[4:5], off glc
	s_waitcnt vmcnt(0)
	global_atomic_cmpswap_x2 v[4:5], v35, v[12:15], s[2:3] offset:24 glc
	s_waitcnt vmcnt(0)
	buffer_invl2
	buffer_wbinvl1_vol
	v_cmp_eq_u64_e32 vcc, v[4:5], v[14:15]
	s_or_b64 s[18:19], vcc, s[18:19]
	s_andn2_b64 exec, exec, s[18:19]
	s_cbranch_execnz .LBB3_260
; %bb.261:                              ;   in Loop: Header=BB3_5 Depth=1
	s_or_b64 exec, exec, s[18:19]
.LBB3_262:                              ;   in Loop: Header=BB3_5 Depth=1
	s_or_b64 exec, exec, s[16:17]
.LBB3_263:                              ;   in Loop: Header=BB3_5 Depth=1
	s_or_b64 exec, exec, s[14:15]
	global_load_dwordx2 v[8:9], v35, s[2:3] offset:40
	global_load_dwordx4 v[14:17], v35, s[2:3]
	v_readfirstlane_b32 s14, v4
	v_readfirstlane_b32 s15, v5
	s_mov_b64 s[16:17], exec
	s_waitcnt vmcnt(1)
	v_readfirstlane_b32 s18, v8
	v_readfirstlane_b32 s19, v9
	s_and_b64 s[18:19], s[14:15], s[18:19]
	s_mul_i32 s20, s19, 24
	s_mul_hi_u32 s21, s18, 24
	s_mul_i32 s22, s18, 24
	s_add_i32 s20, s21, s20
	v_mov_b32_e32 v1, s20
	s_waitcnt vmcnt(0)
	v_add_co_u32_e32 v18, vcc, s22, v14
	v_addc_co_u32_e32 v19, vcc, v15, v1, vcc
	s_and_saveexec_b64 s[20:21], s[0:1]
	s_cbranch_execz .LBB3_265
; %bb.264:                              ;   in Loop: Header=BB3_5 Depth=1
	v_pk_mov_b32 v[4:5], s[16:17], s[16:17] op_sel:[0,1]
	global_store_dwordx4 v[18:19], v[4:7], off offset:8
.LBB3_265:                              ;   in Loop: Header=BB3_5 Depth=1
	s_or_b64 exec, exec, s[20:21]
	s_lshl_b64 s[16:17], s[18:19], 12
	v_mov_b32_e32 v1, s17
	v_add_co_u32_e32 v4, vcc, s16, v16
	v_addc_co_u32_e32 v1, vcc, v17, v1, vcc
	v_and_or_b32 v10, v10, s29, 32
	v_mov_b32_e32 v12, v30
	v_mov_b32_e32 v13, v31
	v_readfirstlane_b32 s16, v4
	v_readfirstlane_b32 s17, v1
	s_nop 4
	global_store_dwordx4 v46, v[10:13], s[16:17]
	v_pk_mov_b32 v[8:9], s[8:9], s[8:9] op_sel:[0,1]
	v_pk_mov_b32 v[10:11], s[10:11], s[10:11] op_sel:[0,1]
	global_store_dwordx4 v46, v[8:11], s[16:17] offset:16
	global_store_dwordx4 v46, v[8:11], s[16:17] offset:32
	;; [unrolled: 1-line block ×3, first 2 shown]
	s_and_saveexec_b64 s[16:17], s[0:1]
	s_cbranch_execz .LBB3_273
; %bb.266:                              ;   in Loop: Header=BB3_5 Depth=1
	global_load_dwordx2 v[22:23], v35, s[2:3] offset:32 glc
	global_load_dwordx2 v[8:9], v35, s[2:3] offset:40
	v_mov_b32_e32 v20, s14
	v_mov_b32_e32 v21, s15
	s_waitcnt vmcnt(0)
	v_readfirstlane_b32 s18, v8
	v_readfirstlane_b32 s19, v9
	s_and_b64 s[18:19], s[18:19], s[14:15]
	s_mul_i32 s19, s19, 24
	s_mul_hi_u32 s20, s18, 24
	s_mul_i32 s18, s18, 24
	s_add_i32 s19, s20, s19
	v_mov_b32_e32 v2, s19
	v_add_co_u32_e32 v12, vcc, s18, v14
	v_addc_co_u32_e32 v13, vcc, v15, v2, vcc
	global_store_dwordx2 v[12:13], v[22:23], off
	buffer_wbl2
	s_waitcnt vmcnt(0)
	global_atomic_cmpswap_x2 v[10:11], v35, v[20:23], s[2:3] offset:32 glc
	s_waitcnt vmcnt(0)
	v_cmp_ne_u64_e32 vcc, v[10:11], v[22:23]
	s_and_saveexec_b64 s[18:19], vcc
	s_cbranch_execz .LBB3_269
; %bb.267:                              ;   in Loop: Header=BB3_5 Depth=1
	s_mov_b64 s[20:21], 0
.LBB3_268:                              ;   Parent Loop BB3_5 Depth=1
                                        ; =>  This Inner Loop Header: Depth=2
	s_sleep 1
	global_store_dwordx2 v[12:13], v[10:11], off
	v_mov_b32_e32 v8, s14
	v_mov_b32_e32 v9, s15
	buffer_wbl2
	s_waitcnt vmcnt(0)
	global_atomic_cmpswap_x2 v[8:9], v35, v[8:11], s[2:3] offset:32 glc
	s_waitcnt vmcnt(0)
	v_cmp_eq_u64_e32 vcc, v[8:9], v[10:11]
	s_or_b64 s[20:21], vcc, s[20:21]
	v_pk_mov_b32 v[10:11], v[8:9], v[8:9] op_sel:[0,1]
	s_andn2_b64 exec, exec, s[20:21]
	s_cbranch_execnz .LBB3_268
.LBB3_269:                              ;   in Loop: Header=BB3_5 Depth=1
	s_or_b64 exec, exec, s[18:19]
	global_load_dwordx2 v[8:9], v35, s[2:3] offset:16
	s_mov_b64 s[20:21], exec
	v_mbcnt_lo_u32_b32 v2, s20, 0
	v_mbcnt_hi_u32_b32 v2, s21, v2
	v_cmp_eq_u32_e32 vcc, 0, v2
	s_and_saveexec_b64 s[18:19], vcc
	s_cbranch_execz .LBB3_271
; %bb.270:                              ;   in Loop: Header=BB3_5 Depth=1
	s_bcnt1_i32_b64 s20, s[20:21]
	v_mov_b32_e32 v2, s20
	buffer_wbl2
	s_waitcnt vmcnt(0)
	global_atomic_add_x2 v[8:9], v[2:3], off offset:8
.LBB3_271:                              ;   in Loop: Header=BB3_5 Depth=1
	s_or_b64 exec, exec, s[18:19]
	s_waitcnt vmcnt(0)
	global_load_dwordx2 v[10:11], v[8:9], off offset:16
	s_waitcnt vmcnt(0)
	v_cmp_eq_u64_e32 vcc, 0, v[10:11]
	s_cbranch_vccnz .LBB3_273
; %bb.272:                              ;   in Loop: Header=BB3_5 Depth=1
	global_load_dword v34, v[8:9], off offset:24
	s_waitcnt vmcnt(0)
	v_and_b32_e32 v2, 0xffffff, v34
	v_readfirstlane_b32 m0, v2
	buffer_wbl2
	global_store_dwordx2 v[10:11], v[34:35], off
	s_sendmsg sendmsg(MSG_INTERRUPT)
.LBB3_273:                              ;   in Loop: Header=BB3_5 Depth=1
	s_or_b64 exec, exec, s[16:17]
	v_add_co_u32_e32 v4, vcc, v4, v46
	v_addc_co_u32_e32 v5, vcc, 0, v1, vcc
	s_branch .LBB3_277
.LBB3_274:                              ;   in Loop: Header=BB3_277 Depth=2
	s_or_b64 exec, exec, s[16:17]
	v_readfirstlane_b32 s16, v1
	s_cmp_eq_u32 s16, 0
	s_cbranch_scc1 .LBB3_276
; %bb.275:                              ;   in Loop: Header=BB3_277 Depth=2
	s_sleep 1
	s_cbranch_execnz .LBB3_277
	s_branch .LBB3_279
.LBB3_276:                              ;   in Loop: Header=BB3_5 Depth=1
	s_branch .LBB3_279
.LBB3_277:                              ;   Parent Loop BB3_5 Depth=1
                                        ; =>  This Inner Loop Header: Depth=2
	v_mov_b32_e32 v1, 1
	s_and_saveexec_b64 s[16:17], s[0:1]
	s_cbranch_execz .LBB3_274
; %bb.278:                              ;   in Loop: Header=BB3_277 Depth=2
	global_load_dword v1, v[18:19], off offset:20 glc
	s_waitcnt vmcnt(0)
	buffer_invl2
	buffer_wbinvl1_vol
	v_and_b32_e32 v1, 1, v1
	s_branch .LBB3_274
.LBB3_279:                              ;   in Loop: Header=BB3_5 Depth=1
	global_load_dwordx2 v[8:9], v[4:5], off
	s_and_saveexec_b64 s[16:17], s[0:1]
	s_cbranch_execz .LBB3_283
; %bb.280:                              ;   in Loop: Header=BB3_5 Depth=1
	global_load_dwordx2 v[4:5], v35, s[2:3] offset:40
	global_load_dwordx2 v[14:15], v35, s[2:3] offset:24 glc
	global_load_dwordx2 v[16:17], v35, s[2:3]
	v_mov_b32_e32 v1, s15
	s_waitcnt vmcnt(2)
	v_add_co_u32_e32 v2, vcc, 1, v4
	v_addc_co_u32_e32 v13, vcc, 0, v5, vcc
	v_add_co_u32_e32 v10, vcc, s14, v2
	v_addc_co_u32_e32 v11, vcc, v13, v1, vcc
	v_cmp_eq_u64_e32 vcc, 0, v[10:11]
	v_cndmask_b32_e32 v11, v11, v13, vcc
	v_cndmask_b32_e32 v10, v10, v2, vcc
	v_and_b32_e32 v1, v11, v5
	v_and_b32_e32 v2, v10, v4
	v_mul_lo_u32 v1, v1, 24
	v_mul_hi_u32 v4, v2, 24
	v_mul_lo_u32 v2, v2, 24
	v_add_u32_e32 v1, v4, v1
	s_waitcnt vmcnt(0)
	v_add_co_u32_e32 v4, vcc, v16, v2
	v_addc_co_u32_e32 v5, vcc, v17, v1, vcc
	v_mov_b32_e32 v12, v14
	global_store_dwordx2 v[4:5], v[14:15], off
	v_mov_b32_e32 v13, v15
	buffer_wbl2
	s_waitcnt vmcnt(0)
	global_atomic_cmpswap_x2 v[12:13], v35, v[10:13], s[2:3] offset:24 glc
	s_waitcnt vmcnt(0)
	v_cmp_ne_u64_e32 vcc, v[12:13], v[14:15]
	s_and_b64 exec, exec, vcc
	s_cbranch_execz .LBB3_283
; %bb.281:                              ;   in Loop: Header=BB3_5 Depth=1
	s_mov_b64 s[0:1], 0
.LBB3_282:                              ;   Parent Loop BB3_5 Depth=1
                                        ; =>  This Inner Loop Header: Depth=2
	s_sleep 1
	global_store_dwordx2 v[4:5], v[12:13], off
	buffer_wbl2
	s_waitcnt vmcnt(0)
	global_atomic_cmpswap_x2 v[14:15], v35, v[10:13], s[2:3] offset:24 glc
	s_waitcnt vmcnt(0)
	v_cmp_eq_u64_e32 vcc, v[14:15], v[12:13]
	s_or_b64 s[0:1], vcc, s[0:1]
	v_pk_mov_b32 v[12:13], v[14:15], v[14:15] op_sel:[0,1]
	s_andn2_b64 exec, exec, s[0:1]
	s_cbranch_execnz .LBB3_282
.LBB3_283:                              ;   in Loop: Header=BB3_5 Depth=1
	s_or_b64 exec, exec, s[16:17]
	v_readfirstlane_b32 s0, v32
	v_cmp_eq_u32_e64 s[0:1], s0, v32
	v_pk_mov_b32 v[4:5], 0, 0
	s_and_saveexec_b64 s[14:15], s[0:1]
	s_cbranch_execz .LBB3_289
; %bb.284:                              ;   in Loop: Header=BB3_5 Depth=1
	global_load_dwordx2 v[12:13], v35, s[2:3] offset:24 glc
	s_waitcnt vmcnt(0)
	buffer_invl2
	buffer_wbinvl1_vol
	global_load_dwordx2 v[4:5], v35, s[2:3] offset:40
	global_load_dwordx2 v[10:11], v35, s[2:3]
	s_waitcnt vmcnt(1)
	v_and_b32_e32 v1, v4, v12
	v_and_b32_e32 v2, v5, v13
	v_mul_lo_u32 v2, v2, 24
	v_mul_hi_u32 v4, v1, 24
	v_mul_lo_u32 v1, v1, 24
	v_add_u32_e32 v2, v4, v2
	s_waitcnt vmcnt(0)
	v_add_co_u32_e32 v4, vcc, v10, v1
	v_addc_co_u32_e32 v5, vcc, v11, v2, vcc
	global_load_dwordx2 v[10:11], v[4:5], off glc
	s_waitcnt vmcnt(0)
	global_atomic_cmpswap_x2 v[4:5], v35, v[10:13], s[2:3] offset:24 glc
	s_waitcnt vmcnt(0)
	buffer_invl2
	buffer_wbinvl1_vol
	v_cmp_ne_u64_e32 vcc, v[4:5], v[12:13]
	s_and_saveexec_b64 s[16:17], vcc
	s_cbranch_execz .LBB3_288
; %bb.285:                              ;   in Loop: Header=BB3_5 Depth=1
	s_mov_b64 s[18:19], 0
.LBB3_286:                              ;   Parent Loop BB3_5 Depth=1
                                        ; =>  This Inner Loop Header: Depth=2
	s_sleep 1
	global_load_dwordx2 v[10:11], v35, s[2:3] offset:40
	global_load_dwordx2 v[14:15], v35, s[2:3]
	v_pk_mov_b32 v[12:13], v[4:5], v[4:5] op_sel:[0,1]
	s_waitcnt vmcnt(1)
	v_and_b32_e32 v2, v10, v12
	s_waitcnt vmcnt(0)
	v_mad_u64_u32 v[4:5], s[20:21], v2, 24, v[14:15]
	v_and_b32_e32 v1, v11, v13
	v_mov_b32_e32 v2, v5
	v_mad_u64_u32 v[10:11], s[20:21], v1, 24, v[2:3]
	v_mov_b32_e32 v5, v10
	global_load_dwordx2 v[10:11], v[4:5], off glc
	s_waitcnt vmcnt(0)
	global_atomic_cmpswap_x2 v[4:5], v35, v[10:13], s[2:3] offset:24 glc
	s_waitcnt vmcnt(0)
	buffer_invl2
	buffer_wbinvl1_vol
	v_cmp_eq_u64_e32 vcc, v[4:5], v[12:13]
	s_or_b64 s[18:19], vcc, s[18:19]
	s_andn2_b64 exec, exec, s[18:19]
	s_cbranch_execnz .LBB3_286
; %bb.287:                              ;   in Loop: Header=BB3_5 Depth=1
	s_or_b64 exec, exec, s[18:19]
.LBB3_288:                              ;   in Loop: Header=BB3_5 Depth=1
	s_or_b64 exec, exec, s[16:17]
.LBB3_289:                              ;   in Loop: Header=BB3_5 Depth=1
	s_or_b64 exec, exec, s[14:15]
	global_load_dwordx2 v[10:11], v35, s[2:3] offset:40
	global_load_dwordx4 v[12:15], v35, s[2:3]
	v_readfirstlane_b32 s14, v4
	v_readfirstlane_b32 s15, v5
	s_mov_b64 s[16:17], exec
	s_waitcnt vmcnt(1)
	v_readfirstlane_b32 s18, v10
	v_readfirstlane_b32 s19, v11
	s_and_b64 s[18:19], s[14:15], s[18:19]
	s_mul_i32 s20, s19, 24
	s_mul_hi_u32 s21, s18, 24
	s_mul_i32 s22, s18, 24
	s_add_i32 s20, s21, s20
	v_mov_b32_e32 v1, s20
	s_waitcnt vmcnt(0)
	v_add_co_u32_e32 v16, vcc, s22, v12
	v_addc_co_u32_e32 v17, vcc, v13, v1, vcc
	s_and_saveexec_b64 s[20:21], s[0:1]
	s_cbranch_execz .LBB3_291
; %bb.290:                              ;   in Loop: Header=BB3_5 Depth=1
	v_pk_mov_b32 v[4:5], s[16:17], s[16:17] op_sel:[0,1]
	global_store_dwordx4 v[16:17], v[4:7], off offset:8
.LBB3_291:                              ;   in Loop: Header=BB3_5 Depth=1
	s_or_b64 exec, exec, s[20:21]
	s_lshl_b64 s[16:17], s[18:19], 12
	v_mov_b32_e32 v1, s17
	v_add_co_u32_e32 v4, vcc, s16, v14
	v_addc_co_u32_e32 v1, vcc, v15, v1, vcc
	v_and_or_b32 v8, v8, s30, 34
	v_mov_b32_e32 v10, s31
	v_mov_b32_e32 v11, v3
	v_readfirstlane_b32 s16, v4
	v_readfirstlane_b32 s17, v1
	s_nop 4
	global_store_dwordx4 v46, v[8:11], s[16:17]
	s_nop 0
	v_pk_mov_b32 v[8:9], s[8:9], s[8:9] op_sel:[0,1]
	v_pk_mov_b32 v[10:11], s[10:11], s[10:11] op_sel:[0,1]
	global_store_dwordx4 v46, v[8:11], s[16:17] offset:16
	global_store_dwordx4 v46, v[8:11], s[16:17] offset:32
	global_store_dwordx4 v46, v[8:11], s[16:17] offset:48
	s_and_saveexec_b64 s[16:17], s[0:1]
	s_cbranch_execz .LBB3_299
; %bb.292:                              ;   in Loop: Header=BB3_5 Depth=1
	global_load_dwordx2 v[20:21], v35, s[2:3] offset:32 glc
	global_load_dwordx2 v[8:9], v35, s[2:3] offset:40
	v_mov_b32_e32 v18, s14
	v_mov_b32_e32 v19, s15
	s_waitcnt vmcnt(0)
	v_readfirstlane_b32 s18, v8
	v_readfirstlane_b32 s19, v9
	s_and_b64 s[18:19], s[18:19], s[14:15]
	s_mul_i32 s19, s19, 24
	s_mul_hi_u32 s20, s18, 24
	s_mul_i32 s18, s18, 24
	s_add_i32 s19, s20, s19
	v_mov_b32_e32 v2, s19
	v_add_co_u32_e32 v12, vcc, s18, v12
	v_addc_co_u32_e32 v13, vcc, v13, v2, vcc
	global_store_dwordx2 v[12:13], v[20:21], off
	buffer_wbl2
	s_waitcnt vmcnt(0)
	global_atomic_cmpswap_x2 v[10:11], v35, v[18:21], s[2:3] offset:32 glc
	s_waitcnt vmcnt(0)
	v_cmp_ne_u64_e32 vcc, v[10:11], v[20:21]
	s_and_saveexec_b64 s[18:19], vcc
	s_cbranch_execz .LBB3_295
; %bb.293:                              ;   in Loop: Header=BB3_5 Depth=1
	s_mov_b64 s[20:21], 0
.LBB3_294:                              ;   Parent Loop BB3_5 Depth=1
                                        ; =>  This Inner Loop Header: Depth=2
	s_sleep 1
	global_store_dwordx2 v[12:13], v[10:11], off
	v_mov_b32_e32 v8, s14
	v_mov_b32_e32 v9, s15
	buffer_wbl2
	s_waitcnt vmcnt(0)
	global_atomic_cmpswap_x2 v[8:9], v35, v[8:11], s[2:3] offset:32 glc
	s_waitcnt vmcnt(0)
	v_cmp_eq_u64_e32 vcc, v[8:9], v[10:11]
	s_or_b64 s[20:21], vcc, s[20:21]
	v_pk_mov_b32 v[10:11], v[8:9], v[8:9] op_sel:[0,1]
	s_andn2_b64 exec, exec, s[20:21]
	s_cbranch_execnz .LBB3_294
.LBB3_295:                              ;   in Loop: Header=BB3_5 Depth=1
	s_or_b64 exec, exec, s[18:19]
	global_load_dwordx2 v[8:9], v35, s[2:3] offset:16
	s_mov_b64 s[20:21], exec
	v_mbcnt_lo_u32_b32 v2, s20, 0
	v_mbcnt_hi_u32_b32 v2, s21, v2
	v_cmp_eq_u32_e32 vcc, 0, v2
	s_and_saveexec_b64 s[18:19], vcc
	s_cbranch_execz .LBB3_297
; %bb.296:                              ;   in Loop: Header=BB3_5 Depth=1
	s_bcnt1_i32_b64 s20, s[20:21]
	v_mov_b32_e32 v2, s20
	buffer_wbl2
	s_waitcnt vmcnt(0)
	global_atomic_add_x2 v[8:9], v[2:3], off offset:8
.LBB3_297:                              ;   in Loop: Header=BB3_5 Depth=1
	s_or_b64 exec, exec, s[18:19]
	s_waitcnt vmcnt(0)
	global_load_dwordx2 v[10:11], v[8:9], off offset:16
	s_waitcnt vmcnt(0)
	v_cmp_eq_u64_e32 vcc, 0, v[10:11]
	s_cbranch_vccnz .LBB3_299
; %bb.298:                              ;   in Loop: Header=BB3_5 Depth=1
	global_load_dword v34, v[8:9], off offset:24
	s_waitcnt vmcnt(0)
	v_and_b32_e32 v2, 0xffffff, v34
	v_readfirstlane_b32 m0, v2
	buffer_wbl2
	global_store_dwordx2 v[10:11], v[34:35], off
	s_sendmsg sendmsg(MSG_INTERRUPT)
.LBB3_299:                              ;   in Loop: Header=BB3_5 Depth=1
	s_or_b64 exec, exec, s[16:17]
	v_add_co_u32_e32 v4, vcc, v4, v46
	v_addc_co_u32_e32 v5, vcc, 0, v1, vcc
	s_branch .LBB3_303
.LBB3_300:                              ;   in Loop: Header=BB3_303 Depth=2
	s_or_b64 exec, exec, s[16:17]
	v_readfirstlane_b32 s16, v1
	s_cmp_eq_u32 s16, 0
	s_cbranch_scc1 .LBB3_302
; %bb.301:                              ;   in Loop: Header=BB3_303 Depth=2
	s_sleep 1
	s_cbranch_execnz .LBB3_303
	s_branch .LBB3_305
.LBB3_302:                              ;   in Loop: Header=BB3_5 Depth=1
	s_branch .LBB3_305
.LBB3_303:                              ;   Parent Loop BB3_5 Depth=1
                                        ; =>  This Inner Loop Header: Depth=2
	v_mov_b32_e32 v1, 1
	s_and_saveexec_b64 s[16:17], s[0:1]
	s_cbranch_execz .LBB3_300
; %bb.304:                              ;   in Loop: Header=BB3_303 Depth=2
	global_load_dword v1, v[16:17], off offset:20 glc
	s_waitcnt vmcnt(0)
	buffer_invl2
	buffer_wbinvl1_vol
	v_and_b32_e32 v1, 1, v1
	s_branch .LBB3_300
.LBB3_305:                              ;   in Loop: Header=BB3_5 Depth=1
	global_load_dwordx2 v[36:37], v[4:5], off
	s_and_saveexec_b64 s[16:17], s[0:1]
	s_cbranch_execz .LBB3_309
; %bb.306:                              ;   in Loop: Header=BB3_5 Depth=1
	global_load_dwordx2 v[4:5], v35, s[2:3] offset:40
	global_load_dwordx2 v[12:13], v35, s[2:3] offset:24 glc
	global_load_dwordx2 v[14:15], v35, s[2:3]
	v_mov_b32_e32 v1, s15
	s_waitcnt vmcnt(2)
	v_add_co_u32_e32 v2, vcc, 1, v4
	v_addc_co_u32_e32 v11, vcc, 0, v5, vcc
	v_add_co_u32_e32 v8, vcc, s14, v2
	v_addc_co_u32_e32 v9, vcc, v11, v1, vcc
	v_cmp_eq_u64_e32 vcc, 0, v[8:9]
	v_cndmask_b32_e32 v9, v9, v11, vcc
	v_cndmask_b32_e32 v8, v8, v2, vcc
	v_and_b32_e32 v1, v9, v5
	v_and_b32_e32 v2, v8, v4
	v_mul_lo_u32 v1, v1, 24
	v_mul_hi_u32 v4, v2, 24
	v_mul_lo_u32 v2, v2, 24
	v_add_u32_e32 v1, v4, v1
	s_waitcnt vmcnt(0)
	v_add_co_u32_e32 v4, vcc, v14, v2
	v_addc_co_u32_e32 v5, vcc, v15, v1, vcc
	v_mov_b32_e32 v10, v12
	global_store_dwordx2 v[4:5], v[12:13], off
	v_mov_b32_e32 v11, v13
	buffer_wbl2
	s_waitcnt vmcnt(0)
	global_atomic_cmpswap_x2 v[10:11], v35, v[8:11], s[2:3] offset:24 glc
	s_waitcnt vmcnt(0)
	v_cmp_ne_u64_e32 vcc, v[10:11], v[12:13]
	s_and_b64 exec, exec, vcc
	s_cbranch_execz .LBB3_309
; %bb.307:                              ;   in Loop: Header=BB3_5 Depth=1
	s_mov_b64 s[0:1], 0
.LBB3_308:                              ;   Parent Loop BB3_5 Depth=1
                                        ; =>  This Inner Loop Header: Depth=2
	s_sleep 1
	global_store_dwordx2 v[4:5], v[10:11], off
	buffer_wbl2
	s_waitcnt vmcnt(0)
	global_atomic_cmpswap_x2 v[12:13], v35, v[8:11], s[2:3] offset:24 glc
	s_waitcnt vmcnt(0)
	v_cmp_eq_u64_e32 vcc, v[12:13], v[10:11]
	s_or_b64 s[0:1], vcc, s[0:1]
	v_pk_mov_b32 v[10:11], v[12:13], v[12:13] op_sel:[0,1]
	s_andn2_b64 exec, exec, s[0:1]
	s_cbranch_execnz .LBB3_308
.LBB3_309:                              ;   in Loop: Header=BB3_5 Depth=1
	s_or_b64 exec, exec, s[16:17]
	v_readfirstlane_b32 s0, v32
	v_cmp_eq_u32_e64 s[0:1], s0, v32
	v_pk_mov_b32 v[4:5], 0, 0
	s_and_saveexec_b64 s[14:15], s[0:1]
	s_cbranch_execz .LBB3_315
; %bb.310:                              ;   in Loop: Header=BB3_5 Depth=1
	global_load_dwordx2 v[10:11], v35, s[2:3] offset:24 glc
	s_waitcnt vmcnt(0)
	buffer_invl2
	buffer_wbinvl1_vol
	global_load_dwordx2 v[4:5], v35, s[2:3] offset:40
	global_load_dwordx2 v[8:9], v35, s[2:3]
	s_waitcnt vmcnt(1)
	v_and_b32_e32 v1, v4, v10
	v_and_b32_e32 v2, v5, v11
	v_mul_lo_u32 v2, v2, 24
	v_mul_hi_u32 v4, v1, 24
	v_mul_lo_u32 v1, v1, 24
	v_add_u32_e32 v2, v4, v2
	s_waitcnt vmcnt(0)
	v_add_co_u32_e32 v4, vcc, v8, v1
	v_addc_co_u32_e32 v5, vcc, v9, v2, vcc
	global_load_dwordx2 v[8:9], v[4:5], off glc
	s_waitcnt vmcnt(0)
	global_atomic_cmpswap_x2 v[4:5], v35, v[8:11], s[2:3] offset:24 glc
	s_waitcnt vmcnt(0)
	buffer_invl2
	buffer_wbinvl1_vol
	v_cmp_ne_u64_e32 vcc, v[4:5], v[10:11]
	s_and_saveexec_b64 s[16:17], vcc
	s_cbranch_execz .LBB3_314
; %bb.311:                              ;   in Loop: Header=BB3_5 Depth=1
	s_mov_b64 s[18:19], 0
.LBB3_312:                              ;   Parent Loop BB3_5 Depth=1
                                        ; =>  This Inner Loop Header: Depth=2
	s_sleep 1
	global_load_dwordx2 v[8:9], v35, s[2:3] offset:40
	global_load_dwordx2 v[12:13], v35, s[2:3]
	v_pk_mov_b32 v[10:11], v[4:5], v[4:5] op_sel:[0,1]
	s_waitcnt vmcnt(1)
	v_and_b32_e32 v2, v8, v10
	s_waitcnt vmcnt(0)
	v_mad_u64_u32 v[4:5], s[20:21], v2, 24, v[12:13]
	v_and_b32_e32 v1, v9, v11
	v_mov_b32_e32 v2, v5
	v_mad_u64_u32 v[8:9], s[20:21], v1, 24, v[2:3]
	v_mov_b32_e32 v5, v8
	global_load_dwordx2 v[8:9], v[4:5], off glc
	s_waitcnt vmcnt(0)
	global_atomic_cmpswap_x2 v[4:5], v35, v[8:11], s[2:3] offset:24 glc
	s_waitcnt vmcnt(0)
	buffer_invl2
	buffer_wbinvl1_vol
	v_cmp_eq_u64_e32 vcc, v[4:5], v[10:11]
	s_or_b64 s[18:19], vcc, s[18:19]
	s_andn2_b64 exec, exec, s[18:19]
	s_cbranch_execnz .LBB3_312
; %bb.313:                              ;   in Loop: Header=BB3_5 Depth=1
	s_or_b64 exec, exec, s[18:19]
.LBB3_314:                              ;   in Loop: Header=BB3_5 Depth=1
	s_or_b64 exec, exec, s[16:17]
.LBB3_315:                              ;   in Loop: Header=BB3_5 Depth=1
	s_or_b64 exec, exec, s[14:15]
	global_load_dwordx2 v[12:13], v35, s[2:3] offset:40
	global_load_dwordx4 v[8:11], v35, s[2:3]
	v_readfirstlane_b32 s14, v4
	v_readfirstlane_b32 s15, v5
	s_mov_b64 s[16:17], exec
	s_waitcnt vmcnt(1)
	v_readfirstlane_b32 s18, v12
	v_readfirstlane_b32 s19, v13
	s_and_b64 s[18:19], s[14:15], s[18:19]
	s_mul_i32 s20, s19, 24
	s_mul_hi_u32 s21, s18, 24
	s_mul_i32 s22, s18, 24
	s_add_i32 s20, s21, s20
	v_mov_b32_e32 v1, s20
	s_waitcnt vmcnt(0)
	v_add_co_u32_e32 v12, vcc, s22, v8
	v_addc_co_u32_e32 v13, vcc, v9, v1, vcc
	s_and_saveexec_b64 s[20:21], s[0:1]
	s_cbranch_execz .LBB3_317
; %bb.316:                              ;   in Loop: Header=BB3_5 Depth=1
	v_pk_mov_b32 v[4:5], s[16:17], s[16:17] op_sel:[0,1]
	global_store_dwordx4 v[12:13], v[4:7], off offset:8
.LBB3_317:                              ;   in Loop: Header=BB3_5 Depth=1
	s_or_b64 exec, exec, s[20:21]
	s_lshl_b64 s[16:17], s[18:19], 12
	v_mov_b32_e32 v1, s17
	v_add_co_u32_e32 v4, vcc, s16, v10
	v_addc_co_u32_e32 v5, vcc, v11, v1, vcc
	v_pk_mov_b32 v[16:17], s[10:11], s[10:11] op_sel:[0,1]
	v_mov_b32_e32 v1, v3
	v_mov_b32_e32 v2, v3
	v_readfirstlane_b32 s16, v4
	v_readfirstlane_b32 s17, v5
	v_pk_mov_b32 v[14:15], s[8:9], s[8:9] op_sel:[0,1]
	s_nop 3
	global_store_dwordx4 v46, v[0:3], s[16:17]
	global_store_dwordx4 v46, v[14:17], s[16:17] offset:16
	global_store_dwordx4 v46, v[14:17], s[16:17] offset:32
	;; [unrolled: 1-line block ×3, first 2 shown]
	s_and_saveexec_b64 s[16:17], s[0:1]
	s_cbranch_execz .LBB3_325
; %bb.318:                              ;   in Loop: Header=BB3_5 Depth=1
	global_load_dwordx2 v[18:19], v35, s[2:3] offset:32 glc
	global_load_dwordx2 v[10:11], v35, s[2:3] offset:40
	v_mov_b32_e32 v16, s14
	v_mov_b32_e32 v17, s15
	s_waitcnt vmcnt(0)
	v_readfirstlane_b32 s18, v10
	v_readfirstlane_b32 s19, v11
	s_and_b64 s[18:19], s[18:19], s[14:15]
	s_mul_i32 s19, s19, 24
	s_mul_hi_u32 s20, s18, 24
	s_mul_i32 s18, s18, 24
	s_add_i32 s19, s20, s19
	v_mov_b32_e32 v1, s19
	v_add_co_u32_e32 v14, vcc, s18, v8
	v_addc_co_u32_e32 v15, vcc, v9, v1, vcc
	global_store_dwordx2 v[14:15], v[18:19], off
	buffer_wbl2
	s_waitcnt vmcnt(0)
	global_atomic_cmpswap_x2 v[10:11], v35, v[16:19], s[2:3] offset:32 glc
	s_waitcnt vmcnt(0)
	v_cmp_ne_u64_e32 vcc, v[10:11], v[18:19]
	s_and_saveexec_b64 s[18:19], vcc
	s_cbranch_execz .LBB3_321
; %bb.319:                              ;   in Loop: Header=BB3_5 Depth=1
	s_mov_b64 s[20:21], 0
.LBB3_320:                              ;   Parent Loop BB3_5 Depth=1
                                        ; =>  This Inner Loop Header: Depth=2
	s_sleep 1
	global_store_dwordx2 v[14:15], v[10:11], off
	v_mov_b32_e32 v8, s14
	v_mov_b32_e32 v9, s15
	buffer_wbl2
	s_waitcnt vmcnt(0)
	global_atomic_cmpswap_x2 v[8:9], v35, v[8:11], s[2:3] offset:32 glc
	s_waitcnt vmcnt(0)
	v_cmp_eq_u64_e32 vcc, v[8:9], v[10:11]
	s_or_b64 s[20:21], vcc, s[20:21]
	v_pk_mov_b32 v[10:11], v[8:9], v[8:9] op_sel:[0,1]
	s_andn2_b64 exec, exec, s[20:21]
	s_cbranch_execnz .LBB3_320
.LBB3_321:                              ;   in Loop: Header=BB3_5 Depth=1
	s_or_b64 exec, exec, s[18:19]
	global_load_dwordx2 v[8:9], v35, s[2:3] offset:16
	s_mov_b64 s[20:21], exec
	v_mbcnt_lo_u32_b32 v1, s20, 0
	v_mbcnt_hi_u32_b32 v1, s21, v1
	v_cmp_eq_u32_e32 vcc, 0, v1
	s_and_saveexec_b64 s[18:19], vcc
	s_cbranch_execz .LBB3_323
; %bb.322:                              ;   in Loop: Header=BB3_5 Depth=1
	s_bcnt1_i32_b64 s20, s[20:21]
	v_mov_b32_e32 v2, s20
	buffer_wbl2
	s_waitcnt vmcnt(0)
	global_atomic_add_x2 v[8:9], v[2:3], off offset:8
.LBB3_323:                              ;   in Loop: Header=BB3_5 Depth=1
	s_or_b64 exec, exec, s[18:19]
	s_waitcnt vmcnt(0)
	global_load_dwordx2 v[10:11], v[8:9], off offset:16
	s_waitcnt vmcnt(0)
	v_cmp_eq_u64_e32 vcc, 0, v[10:11]
	s_cbranch_vccnz .LBB3_325
; %bb.324:                              ;   in Loop: Header=BB3_5 Depth=1
	global_load_dword v34, v[8:9], off offset:24
	s_waitcnt vmcnt(0)
	v_and_b32_e32 v1, 0xffffff, v34
	v_readfirstlane_b32 m0, v1
	buffer_wbl2
	global_store_dwordx2 v[10:11], v[34:35], off
	s_sendmsg sendmsg(MSG_INTERRUPT)
.LBB3_325:                              ;   in Loop: Header=BB3_5 Depth=1
	s_or_b64 exec, exec, s[16:17]
	v_add_co_u32_e32 v4, vcc, v4, v46
	v_addc_co_u32_e32 v5, vcc, 0, v5, vcc
	s_branch .LBB3_329
.LBB3_326:                              ;   in Loop: Header=BB3_329 Depth=2
	s_or_b64 exec, exec, s[16:17]
	v_readfirstlane_b32 s16, v1
	s_cmp_eq_u32 s16, 0
	s_cbranch_scc1 .LBB3_328
; %bb.327:                              ;   in Loop: Header=BB3_329 Depth=2
	s_sleep 1
	s_cbranch_execnz .LBB3_329
	s_branch .LBB3_331
.LBB3_328:                              ;   in Loop: Header=BB3_5 Depth=1
	s_branch .LBB3_331
.LBB3_329:                              ;   Parent Loop BB3_5 Depth=1
                                        ; =>  This Inner Loop Header: Depth=2
	v_mov_b32_e32 v1, 1
	s_and_saveexec_b64 s[16:17], s[0:1]
	s_cbranch_execz .LBB3_326
; %bb.330:                              ;   in Loop: Header=BB3_329 Depth=2
	global_load_dword v1, v[12:13], off offset:20 glc
	s_waitcnt vmcnt(0)
	buffer_invl2
	buffer_wbinvl1_vol
	v_and_b32_e32 v1, 1, v1
	s_branch .LBB3_326
.LBB3_331:                              ;   in Loop: Header=BB3_5 Depth=1
	global_load_dwordx2 v[12:13], v[4:5], off
	s_and_saveexec_b64 s[16:17], s[0:1]
	s_cbranch_execz .LBB3_335
; %bb.332:                              ;   in Loop: Header=BB3_5 Depth=1
	global_load_dwordx2 v[4:5], v35, s[2:3] offset:40
	global_load_dwordx2 v[14:15], v35, s[2:3] offset:24 glc
	global_load_dwordx2 v[16:17], v35, s[2:3]
	v_mov_b32_e32 v1, s15
	s_waitcnt vmcnt(2)
	v_add_co_u32_e32 v2, vcc, 1, v4
	v_addc_co_u32_e32 v11, vcc, 0, v5, vcc
	v_add_co_u32_e32 v8, vcc, s14, v2
	v_addc_co_u32_e32 v9, vcc, v11, v1, vcc
	v_cmp_eq_u64_e32 vcc, 0, v[8:9]
	v_cndmask_b32_e32 v9, v9, v11, vcc
	v_cndmask_b32_e32 v8, v8, v2, vcc
	v_and_b32_e32 v1, v9, v5
	v_and_b32_e32 v2, v8, v4
	v_mul_lo_u32 v1, v1, 24
	v_mul_hi_u32 v4, v2, 24
	v_mul_lo_u32 v2, v2, 24
	v_add_u32_e32 v1, v4, v1
	s_waitcnt vmcnt(0)
	v_add_co_u32_e32 v4, vcc, v16, v2
	v_addc_co_u32_e32 v5, vcc, v17, v1, vcc
	v_mov_b32_e32 v10, v14
	global_store_dwordx2 v[4:5], v[14:15], off
	v_mov_b32_e32 v11, v15
	buffer_wbl2
	s_waitcnt vmcnt(0)
	global_atomic_cmpswap_x2 v[10:11], v35, v[8:11], s[2:3] offset:24 glc
	s_waitcnt vmcnt(0)
	v_cmp_ne_u64_e32 vcc, v[10:11], v[14:15]
	s_and_b64 exec, exec, vcc
	s_cbranch_execz .LBB3_335
; %bb.333:                              ;   in Loop: Header=BB3_5 Depth=1
	s_mov_b64 s[0:1], 0
.LBB3_334:                              ;   Parent Loop BB3_5 Depth=1
                                        ; =>  This Inner Loop Header: Depth=2
	s_sleep 1
	global_store_dwordx2 v[4:5], v[10:11], off
	buffer_wbl2
	s_waitcnt vmcnt(0)
	global_atomic_cmpswap_x2 v[14:15], v35, v[8:11], s[2:3] offset:24 glc
	s_waitcnt vmcnt(0)
	v_cmp_eq_u64_e32 vcc, v[14:15], v[10:11]
	s_or_b64 s[0:1], vcc, s[0:1]
	v_pk_mov_b32 v[10:11], v[14:15], v[14:15] op_sel:[0,1]
	s_andn2_b64 exec, exec, s[0:1]
	s_cbranch_execnz .LBB3_334
.LBB3_335:                              ;   in Loop: Header=BB3_5 Depth=1
	s_or_b64 exec, exec, s[16:17]
	s_and_b64 vcc, exec, s[6:7]
	s_cbranch_vccz .LBB3_505
; %bb.336:                              ;   in Loop: Header=BB3_5 Depth=1
	s_waitcnt vmcnt(0)
	v_and_b32_e32 v38, 2, v12
	v_and_b32_e32 v8, -3, v12
	v_mov_b32_e32 v9, v13
	s_mov_b64 s[16:17], 9
	s_getpc_b64 s[14:15]
	s_add_u32 s14, s14, .str.5@rel32@lo+4
	s_addc_u32 s15, s15, .str.5@rel32@hi+12
	s_branch .LBB3_338
.LBB3_337:                              ;   in Loop: Header=BB3_338 Depth=2
	s_or_b64 exec, exec, s[22:23]
	s_sub_u32 s16, s16, s18
	s_subb_u32 s17, s17, s19
	s_add_u32 s14, s14, s18
	s_addc_u32 s15, s15, s19
	s_cmp_lg_u64 s[16:17], 0
	s_cbranch_scc0 .LBB3_419
.LBB3_338:                              ;   Parent Loop BB3_5 Depth=1
                                        ; =>  This Loop Header: Depth=2
                                        ;       Child Loop BB3_341 Depth 3
                                        ;       Child Loop BB3_348 Depth 3
	;; [unrolled: 1-line block ×11, first 2 shown]
	v_cmp_lt_u64_e64 s[0:1], s[16:17], 56
	s_and_b64 s[0:1], s[0:1], exec
	v_cmp_gt_u64_e64 s[0:1], s[16:17], 7
	s_cselect_b32 s19, s17, 0
	s_cselect_b32 s18, s16, 56
	s_and_b64 vcc, exec, s[0:1]
	s_cbranch_vccnz .LBB3_343
; %bb.339:                              ;   in Loop: Header=BB3_338 Depth=2
	s_mov_b64 s[0:1], 0
	s_cmp_eq_u64 s[16:17], 0
	s_waitcnt vmcnt(0)
	v_pk_mov_b32 v[10:11], 0, 0
	s_cbranch_scc1 .LBB3_342
; %bb.340:                              ;   in Loop: Header=BB3_338 Depth=2
	s_lshl_b64 s[20:21], s[18:19], 3
	s_mov_b64 s[22:23], 0
	v_pk_mov_b32 v[10:11], 0, 0
	s_mov_b64 s[24:25], s[14:15]
.LBB3_341:                              ;   Parent Loop BB3_5 Depth=1
                                        ;     Parent Loop BB3_338 Depth=2
                                        ; =>    This Inner Loop Header: Depth=3
	global_load_ubyte v1, v35, s[24:25]
	s_waitcnt vmcnt(0)
	v_and_b32_e32 v34, 0xffff, v1
	v_lshlrev_b64 v[4:5], s22, v[34:35]
	s_add_u32 s22, s22, 8
	s_addc_u32 s23, s23, 0
	s_add_u32 s24, s24, 1
	s_addc_u32 s25, s25, 0
	v_or_b32_e32 v10, v4, v10
	s_cmp_lg_u32 s20, s22
	v_or_b32_e32 v11, v5, v11
	s_cbranch_scc1 .LBB3_341
.LBB3_342:                              ;   in Loop: Header=BB3_338 Depth=2
	s_mov_b32 s24, 0
	s_andn2_b64 vcc, exec, s[0:1]
	s_mov_b64 s[0:1], s[14:15]
	s_cbranch_vccz .LBB3_344
	s_branch .LBB3_345
.LBB3_343:                              ;   in Loop: Header=BB3_338 Depth=2
                                        ; implicit-def: $vgpr10_vgpr11
                                        ; implicit-def: $sgpr24
	s_mov_b64 s[0:1], s[14:15]
.LBB3_344:                              ;   in Loop: Header=BB3_338 Depth=2
	global_load_dwordx2 v[10:11], v35, s[14:15]
	s_add_i32 s24, s18, -8
	s_add_u32 s0, s14, 8
	s_addc_u32 s1, s15, 0
.LBB3_345:                              ;   in Loop: Header=BB3_338 Depth=2
	s_cmp_gt_u32 s24, 7
	s_cbranch_scc1 .LBB3_349
; %bb.346:                              ;   in Loop: Header=BB3_338 Depth=2
	s_cmp_eq_u32 s24, 0
	s_cbranch_scc1 .LBB3_350
; %bb.347:                              ;   in Loop: Header=BB3_338 Depth=2
	s_mov_b64 s[20:21], 0
	v_pk_mov_b32 v[14:15], 0, 0
	s_mov_b64 s[22:23], 0
.LBB3_348:                              ;   Parent Loop BB3_5 Depth=1
                                        ;     Parent Loop BB3_338 Depth=2
                                        ; =>    This Inner Loop Header: Depth=3
	s_add_u32 s26, s0, s22
	s_addc_u32 s27, s1, s23
	global_load_ubyte v1, v35, s[26:27]
	s_add_u32 s22, s22, 1
	s_addc_u32 s23, s23, 0
	s_waitcnt vmcnt(0)
	v_and_b32_e32 v34, 0xffff, v1
	v_lshlrev_b64 v[4:5], s20, v[34:35]
	s_add_u32 s20, s20, 8
	s_addc_u32 s21, s21, 0
	v_or_b32_e32 v14, v4, v14
	s_cmp_lg_u32 s24, s22
	v_or_b32_e32 v15, v5, v15
	s_cbranch_scc1 .LBB3_348
	s_branch .LBB3_351
.LBB3_349:                              ;   in Loop: Header=BB3_338 Depth=2
                                        ; implicit-def: $vgpr14_vgpr15
                                        ; implicit-def: $sgpr25
	s_branch .LBB3_352
.LBB3_350:                              ;   in Loop: Header=BB3_338 Depth=2
	v_pk_mov_b32 v[14:15], 0, 0
.LBB3_351:                              ;   in Loop: Header=BB3_338 Depth=2
	s_mov_b32 s25, 0
	s_cbranch_execnz .LBB3_353
.LBB3_352:                              ;   in Loop: Header=BB3_338 Depth=2
	global_load_dwordx2 v[14:15], v35, s[0:1]
	s_add_i32 s25, s24, -8
	s_add_u32 s0, s0, 8
	s_addc_u32 s1, s1, 0
.LBB3_353:                              ;   in Loop: Header=BB3_338 Depth=2
	s_cmp_gt_u32 s25, 7
	s_cbranch_scc1 .LBB3_357
; %bb.354:                              ;   in Loop: Header=BB3_338 Depth=2
	s_cmp_eq_u32 s25, 0
	s_cbranch_scc1 .LBB3_358
; %bb.355:                              ;   in Loop: Header=BB3_338 Depth=2
	s_mov_b64 s[20:21], 0
	v_pk_mov_b32 v[16:17], 0, 0
	s_mov_b64 s[22:23], 0
.LBB3_356:                              ;   Parent Loop BB3_5 Depth=1
                                        ;     Parent Loop BB3_338 Depth=2
                                        ; =>    This Inner Loop Header: Depth=3
	s_add_u32 s26, s0, s22
	s_addc_u32 s27, s1, s23
	global_load_ubyte v1, v35, s[26:27]
	s_add_u32 s22, s22, 1
	s_addc_u32 s23, s23, 0
	s_waitcnt vmcnt(0)
	v_and_b32_e32 v34, 0xffff, v1
	v_lshlrev_b64 v[4:5], s20, v[34:35]
	s_add_u32 s20, s20, 8
	s_addc_u32 s21, s21, 0
	v_or_b32_e32 v16, v4, v16
	s_cmp_lg_u32 s25, s22
	v_or_b32_e32 v17, v5, v17
	s_cbranch_scc1 .LBB3_356
	s_branch .LBB3_359
.LBB3_357:                              ;   in Loop: Header=BB3_338 Depth=2
                                        ; implicit-def: $sgpr24
	s_branch .LBB3_360
.LBB3_358:                              ;   in Loop: Header=BB3_338 Depth=2
	v_pk_mov_b32 v[16:17], 0, 0
.LBB3_359:                              ;   in Loop: Header=BB3_338 Depth=2
	s_mov_b32 s24, 0
	s_cbranch_execnz .LBB3_361
.LBB3_360:                              ;   in Loop: Header=BB3_338 Depth=2
	global_load_dwordx2 v[16:17], v35, s[0:1]
	s_add_i32 s24, s25, -8
	s_add_u32 s0, s0, 8
	s_addc_u32 s1, s1, 0
.LBB3_361:                              ;   in Loop: Header=BB3_338 Depth=2
	s_cmp_gt_u32 s24, 7
	s_cbranch_scc1 .LBB3_365
; %bb.362:                              ;   in Loop: Header=BB3_338 Depth=2
	s_cmp_eq_u32 s24, 0
	s_cbranch_scc1 .LBB3_366
; %bb.363:                              ;   in Loop: Header=BB3_338 Depth=2
	s_mov_b64 s[20:21], 0
	v_pk_mov_b32 v[18:19], 0, 0
	s_mov_b64 s[22:23], 0
.LBB3_364:                              ;   Parent Loop BB3_5 Depth=1
                                        ;     Parent Loop BB3_338 Depth=2
                                        ; =>    This Inner Loop Header: Depth=3
	s_add_u32 s26, s0, s22
	s_addc_u32 s27, s1, s23
	global_load_ubyte v1, v35, s[26:27]
	s_add_u32 s22, s22, 1
	s_addc_u32 s23, s23, 0
	s_waitcnt vmcnt(0)
	v_and_b32_e32 v34, 0xffff, v1
	v_lshlrev_b64 v[4:5], s20, v[34:35]
	s_add_u32 s20, s20, 8
	s_addc_u32 s21, s21, 0
	v_or_b32_e32 v18, v4, v18
	s_cmp_lg_u32 s24, s22
	v_or_b32_e32 v19, v5, v19
	s_cbranch_scc1 .LBB3_364
	s_branch .LBB3_367
.LBB3_365:                              ;   in Loop: Header=BB3_338 Depth=2
                                        ; implicit-def: $vgpr18_vgpr19
                                        ; implicit-def: $sgpr25
	s_branch .LBB3_368
.LBB3_366:                              ;   in Loop: Header=BB3_338 Depth=2
	v_pk_mov_b32 v[18:19], 0, 0
.LBB3_367:                              ;   in Loop: Header=BB3_338 Depth=2
	s_mov_b32 s25, 0
	s_cbranch_execnz .LBB3_369
.LBB3_368:                              ;   in Loop: Header=BB3_338 Depth=2
	global_load_dwordx2 v[18:19], v35, s[0:1]
	s_add_i32 s25, s24, -8
	s_add_u32 s0, s0, 8
	s_addc_u32 s1, s1, 0
.LBB3_369:                              ;   in Loop: Header=BB3_338 Depth=2
	s_cmp_gt_u32 s25, 7
	s_cbranch_scc1 .LBB3_373
; %bb.370:                              ;   in Loop: Header=BB3_338 Depth=2
	s_cmp_eq_u32 s25, 0
	s_cbranch_scc1 .LBB3_374
; %bb.371:                              ;   in Loop: Header=BB3_338 Depth=2
	s_mov_b64 s[20:21], 0
	v_pk_mov_b32 v[20:21], 0, 0
	s_mov_b64 s[22:23], 0
.LBB3_372:                              ;   Parent Loop BB3_5 Depth=1
                                        ;     Parent Loop BB3_338 Depth=2
                                        ; =>    This Inner Loop Header: Depth=3
	s_add_u32 s26, s0, s22
	s_addc_u32 s27, s1, s23
	global_load_ubyte v1, v35, s[26:27]
	s_add_u32 s22, s22, 1
	s_addc_u32 s23, s23, 0
	s_waitcnt vmcnt(0)
	v_and_b32_e32 v34, 0xffff, v1
	v_lshlrev_b64 v[4:5], s20, v[34:35]
	s_add_u32 s20, s20, 8
	s_addc_u32 s21, s21, 0
	v_or_b32_e32 v20, v4, v20
	s_cmp_lg_u32 s25, s22
	v_or_b32_e32 v21, v5, v21
	s_cbranch_scc1 .LBB3_372
	s_branch .LBB3_375
.LBB3_373:                              ;   in Loop: Header=BB3_338 Depth=2
                                        ; implicit-def: $sgpr24
	s_branch .LBB3_376
.LBB3_374:                              ;   in Loop: Header=BB3_338 Depth=2
	v_pk_mov_b32 v[20:21], 0, 0
.LBB3_375:                              ;   in Loop: Header=BB3_338 Depth=2
	s_mov_b32 s24, 0
	s_cbranch_execnz .LBB3_377
.LBB3_376:                              ;   in Loop: Header=BB3_338 Depth=2
	global_load_dwordx2 v[20:21], v35, s[0:1]
	s_add_i32 s24, s25, -8
	s_add_u32 s0, s0, 8
	s_addc_u32 s1, s1, 0
.LBB3_377:                              ;   in Loop: Header=BB3_338 Depth=2
	s_cmp_gt_u32 s24, 7
	s_cbranch_scc1 .LBB3_381
; %bb.378:                              ;   in Loop: Header=BB3_338 Depth=2
	s_cmp_eq_u32 s24, 0
	s_cbranch_scc1 .LBB3_382
; %bb.379:                              ;   in Loop: Header=BB3_338 Depth=2
	s_mov_b64 s[20:21], 0
	v_pk_mov_b32 v[22:23], 0, 0
	s_mov_b64 s[22:23], 0
.LBB3_380:                              ;   Parent Loop BB3_5 Depth=1
                                        ;     Parent Loop BB3_338 Depth=2
                                        ; =>    This Inner Loop Header: Depth=3
	s_add_u32 s26, s0, s22
	s_addc_u32 s27, s1, s23
	global_load_ubyte v1, v35, s[26:27]
	s_add_u32 s22, s22, 1
	s_addc_u32 s23, s23, 0
	s_waitcnt vmcnt(0)
	v_and_b32_e32 v34, 0xffff, v1
	v_lshlrev_b64 v[4:5], s20, v[34:35]
	s_add_u32 s20, s20, 8
	s_addc_u32 s21, s21, 0
	v_or_b32_e32 v22, v4, v22
	s_cmp_lg_u32 s24, s22
	v_or_b32_e32 v23, v5, v23
	s_cbranch_scc1 .LBB3_380
	s_branch .LBB3_383
.LBB3_381:                              ;   in Loop: Header=BB3_338 Depth=2
                                        ; implicit-def: $vgpr22_vgpr23
                                        ; implicit-def: $sgpr25
	s_branch .LBB3_384
.LBB3_382:                              ;   in Loop: Header=BB3_338 Depth=2
	v_pk_mov_b32 v[22:23], 0, 0
.LBB3_383:                              ;   in Loop: Header=BB3_338 Depth=2
	s_mov_b32 s25, 0
	s_cbranch_execnz .LBB3_385
.LBB3_384:                              ;   in Loop: Header=BB3_338 Depth=2
	global_load_dwordx2 v[22:23], v35, s[0:1]
	s_add_i32 s25, s24, -8
	s_add_u32 s0, s0, 8
	s_addc_u32 s1, s1, 0
.LBB3_385:                              ;   in Loop: Header=BB3_338 Depth=2
	s_cmp_gt_u32 s25, 7
	s_cbranch_scc1 .LBB3_389
; %bb.386:                              ;   in Loop: Header=BB3_338 Depth=2
	s_cmp_eq_u32 s25, 0
	s_cbranch_scc1 .LBB3_390
; %bb.387:                              ;   in Loop: Header=BB3_338 Depth=2
	s_mov_b64 s[20:21], 0
	v_pk_mov_b32 v[24:25], 0, 0
	s_mov_b64 s[22:23], s[0:1]
.LBB3_388:                              ;   Parent Loop BB3_5 Depth=1
                                        ;     Parent Loop BB3_338 Depth=2
                                        ; =>    This Inner Loop Header: Depth=3
	global_load_ubyte v1, v35, s[22:23]
	s_add_i32 s25, s25, -1
	s_waitcnt vmcnt(0)
	v_and_b32_e32 v34, 0xffff, v1
	v_lshlrev_b64 v[4:5], s20, v[34:35]
	s_add_u32 s20, s20, 8
	s_addc_u32 s21, s21, 0
	s_add_u32 s22, s22, 1
	s_addc_u32 s23, s23, 0
	v_or_b32_e32 v24, v4, v24
	s_cmp_lg_u32 s25, 0
	v_or_b32_e32 v25, v5, v25
	s_cbranch_scc1 .LBB3_388
	s_branch .LBB3_391
.LBB3_389:                              ;   in Loop: Header=BB3_338 Depth=2
	s_branch .LBB3_392
.LBB3_390:                              ;   in Loop: Header=BB3_338 Depth=2
	v_pk_mov_b32 v[24:25], 0, 0
.LBB3_391:                              ;   in Loop: Header=BB3_338 Depth=2
	s_cbranch_execnz .LBB3_393
.LBB3_392:                              ;   in Loop: Header=BB3_338 Depth=2
	global_load_dwordx2 v[24:25], v35, s[0:1]
.LBB3_393:                              ;   in Loop: Header=BB3_338 Depth=2
	v_readfirstlane_b32 s0, v32
	v_cmp_eq_u32_e64 s[0:1], s0, v32
	v_pk_mov_b32 v[4:5], 0, 0
	s_and_saveexec_b64 s[20:21], s[0:1]
	s_cbranch_execz .LBB3_399
; %bb.394:                              ;   in Loop: Header=BB3_338 Depth=2
	global_load_dwordx2 v[28:29], v35, s[2:3] offset:24 glc
	s_waitcnt vmcnt(0)
	buffer_invl2
	buffer_wbinvl1_vol
	global_load_dwordx2 v[4:5], v35, s[2:3] offset:40
	global_load_dwordx2 v[26:27], v35, s[2:3]
	s_waitcnt vmcnt(1)
	v_and_b32_e32 v1, v4, v28
	v_and_b32_e32 v2, v5, v29
	v_mul_lo_u32 v2, v2, 24
	v_mul_hi_u32 v4, v1, 24
	v_mul_lo_u32 v1, v1, 24
	v_add_u32_e32 v2, v4, v2
	s_waitcnt vmcnt(0)
	v_add_co_u32_e32 v4, vcc, v26, v1
	v_addc_co_u32_e32 v5, vcc, v27, v2, vcc
	global_load_dwordx2 v[26:27], v[4:5], off glc
	s_waitcnt vmcnt(0)
	global_atomic_cmpswap_x2 v[4:5], v35, v[26:29], s[2:3] offset:24 glc
	s_waitcnt vmcnt(0)
	buffer_invl2
	buffer_wbinvl1_vol
	v_cmp_ne_u64_e32 vcc, v[4:5], v[28:29]
	s_and_saveexec_b64 s[22:23], vcc
	s_cbranch_execz .LBB3_398
; %bb.395:                              ;   in Loop: Header=BB3_338 Depth=2
	s_mov_b64 s[24:25], 0
.LBB3_396:                              ;   Parent Loop BB3_5 Depth=1
                                        ;     Parent Loop BB3_338 Depth=2
                                        ; =>    This Inner Loop Header: Depth=3
	s_sleep 1
	global_load_dwordx2 v[26:27], v35, s[2:3] offset:40
	global_load_dwordx2 v[40:41], v35, s[2:3]
	v_pk_mov_b32 v[28:29], v[4:5], v[4:5] op_sel:[0,1]
	s_waitcnt vmcnt(1)
	v_and_b32_e32 v2, v26, v28
	s_waitcnt vmcnt(0)
	v_mad_u64_u32 v[4:5], s[26:27], v2, 24, v[40:41]
	v_and_b32_e32 v1, v27, v29
	v_mov_b32_e32 v2, v5
	v_mad_u64_u32 v[26:27], s[26:27], v1, 24, v[2:3]
	v_mov_b32_e32 v5, v26
	global_load_dwordx2 v[26:27], v[4:5], off glc
	s_waitcnt vmcnt(0)
	global_atomic_cmpswap_x2 v[4:5], v35, v[26:29], s[2:3] offset:24 glc
	s_waitcnt vmcnt(0)
	buffer_invl2
	buffer_wbinvl1_vol
	v_cmp_eq_u64_e32 vcc, v[4:5], v[28:29]
	s_or_b64 s[24:25], vcc, s[24:25]
	s_andn2_b64 exec, exec, s[24:25]
	s_cbranch_execnz .LBB3_396
; %bb.397:                              ;   in Loop: Header=BB3_338 Depth=2
	s_or_b64 exec, exec, s[24:25]
.LBB3_398:                              ;   in Loop: Header=BB3_338 Depth=2
	s_or_b64 exec, exec, s[22:23]
.LBB3_399:                              ;   in Loop: Header=BB3_338 Depth=2
	s_or_b64 exec, exec, s[20:21]
	global_load_dwordx2 v[40:41], v35, s[2:3] offset:40
	global_load_dwordx4 v[26:29], v35, s[2:3]
	v_readfirstlane_b32 s20, v4
	v_readfirstlane_b32 s21, v5
	s_mov_b64 s[22:23], exec
	s_waitcnt vmcnt(1)
	v_readfirstlane_b32 s24, v40
	v_readfirstlane_b32 s25, v41
	s_and_b64 s[24:25], s[20:21], s[24:25]
	s_mul_i32 s26, s25, 24
	s_mul_hi_u32 s27, s24, 24
	s_mul_i32 s33, s24, 24
	s_add_i32 s26, s27, s26
	v_mov_b32_e32 v1, s26
	s_waitcnt vmcnt(0)
	v_add_co_u32_e32 v40, vcc, s33, v26
	v_addc_co_u32_e32 v41, vcc, v27, v1, vcc
	s_and_saveexec_b64 s[26:27], s[0:1]
	s_cbranch_execz .LBB3_401
; %bb.400:                              ;   in Loop: Header=BB3_338 Depth=2
	v_pk_mov_b32 v[4:5], s[22:23], s[22:23] op_sel:[0,1]
	global_store_dwordx4 v[40:41], v[4:7], off offset:8
.LBB3_401:                              ;   in Loop: Header=BB3_338 Depth=2
	s_or_b64 exec, exec, s[26:27]
	s_lshl_b64 s[22:23], s[24:25], 12
	v_mov_b32_e32 v1, s23
	v_add_co_u32_e32 v4, vcc, s22, v28
	v_addc_co_u32_e32 v1, vcc, v29, v1, vcc
	v_or_b32_e32 v2, 0, v9
	v_or_b32_e32 v5, v8, v38
	v_cmp_gt_u64_e64 vcc, s[16:17], 56
	s_lshl_b32 s22, s18, 2
	v_cndmask_b32_e32 v9, v2, v9, vcc
	v_cndmask_b32_e32 v2, v5, v8, vcc
	s_add_i32 s22, s22, 28
	s_and_b32 s22, s22, 0x1e0
	v_and_b32_e32 v2, 0xffffff1f, v2
	v_or_b32_e32 v8, s22, v2
	v_readfirstlane_b32 s22, v4
	v_readfirstlane_b32 s23, v1
	s_nop 4
	global_store_dwordx4 v46, v[8:11], s[22:23]
	global_store_dwordx4 v46, v[14:17], s[22:23] offset:16
	global_store_dwordx4 v46, v[18:21], s[22:23] offset:32
	;; [unrolled: 1-line block ×3, first 2 shown]
	s_and_saveexec_b64 s[22:23], s[0:1]
	s_cbranch_execz .LBB3_409
; %bb.402:                              ;   in Loop: Header=BB3_338 Depth=2
	global_load_dwordx2 v[18:19], v35, s[2:3] offset:32 glc
	global_load_dwordx2 v[8:9], v35, s[2:3] offset:40
	v_mov_b32_e32 v16, s20
	v_mov_b32_e32 v17, s21
	s_waitcnt vmcnt(0)
	v_readfirstlane_b32 s24, v8
	v_readfirstlane_b32 s25, v9
	s_and_b64 s[24:25], s[24:25], s[20:21]
	s_mul_i32 s25, s25, 24
	s_mul_hi_u32 s26, s24, 24
	s_mul_i32 s24, s24, 24
	s_add_i32 s25, s26, s25
	v_mov_b32_e32 v2, s25
	v_add_co_u32_e32 v14, vcc, s24, v26
	v_addc_co_u32_e32 v15, vcc, v27, v2, vcc
	global_store_dwordx2 v[14:15], v[18:19], off
	buffer_wbl2
	s_waitcnt vmcnt(0)
	global_atomic_cmpswap_x2 v[10:11], v35, v[16:19], s[2:3] offset:32 glc
	s_waitcnt vmcnt(0)
	v_cmp_ne_u64_e32 vcc, v[10:11], v[18:19]
	s_and_saveexec_b64 s[24:25], vcc
	s_cbranch_execz .LBB3_405
; %bb.403:                              ;   in Loop: Header=BB3_338 Depth=2
	s_mov_b64 s[26:27], 0
.LBB3_404:                              ;   Parent Loop BB3_5 Depth=1
                                        ;     Parent Loop BB3_338 Depth=2
                                        ; =>    This Inner Loop Header: Depth=3
	s_sleep 1
	global_store_dwordx2 v[14:15], v[10:11], off
	v_mov_b32_e32 v8, s20
	v_mov_b32_e32 v9, s21
	buffer_wbl2
	s_waitcnt vmcnt(0)
	global_atomic_cmpswap_x2 v[8:9], v35, v[8:11], s[2:3] offset:32 glc
	s_waitcnt vmcnt(0)
	v_cmp_eq_u64_e32 vcc, v[8:9], v[10:11]
	s_or_b64 s[26:27], vcc, s[26:27]
	v_pk_mov_b32 v[10:11], v[8:9], v[8:9] op_sel:[0,1]
	s_andn2_b64 exec, exec, s[26:27]
	s_cbranch_execnz .LBB3_404
.LBB3_405:                              ;   in Loop: Header=BB3_338 Depth=2
	s_or_b64 exec, exec, s[24:25]
	global_load_dwordx2 v[8:9], v35, s[2:3] offset:16
	s_mov_b64 s[26:27], exec
	v_mbcnt_lo_u32_b32 v2, s26, 0
	v_mbcnt_hi_u32_b32 v2, s27, v2
	v_cmp_eq_u32_e32 vcc, 0, v2
	s_and_saveexec_b64 s[24:25], vcc
	s_cbranch_execz .LBB3_407
; %bb.406:                              ;   in Loop: Header=BB3_338 Depth=2
	s_bcnt1_i32_b64 s26, s[26:27]
	v_mov_b32_e32 v2, s26
	buffer_wbl2
	s_waitcnt vmcnt(0)
	global_atomic_add_x2 v[8:9], v[2:3], off offset:8
.LBB3_407:                              ;   in Loop: Header=BB3_338 Depth=2
	s_or_b64 exec, exec, s[24:25]
	s_waitcnt vmcnt(0)
	global_load_dwordx2 v[10:11], v[8:9], off offset:16
	s_waitcnt vmcnt(0)
	v_cmp_eq_u64_e32 vcc, 0, v[10:11]
	s_cbranch_vccnz .LBB3_409
; %bb.408:                              ;   in Loop: Header=BB3_338 Depth=2
	global_load_dword v34, v[8:9], off offset:24
	s_waitcnt vmcnt(0)
	v_and_b32_e32 v2, 0xffffff, v34
	v_readfirstlane_b32 m0, v2
	buffer_wbl2
	global_store_dwordx2 v[10:11], v[34:35], off
	s_sendmsg sendmsg(MSG_INTERRUPT)
.LBB3_409:                              ;   in Loop: Header=BB3_338 Depth=2
	s_or_b64 exec, exec, s[22:23]
	v_add_co_u32_e32 v4, vcc, v4, v46
	v_addc_co_u32_e32 v5, vcc, 0, v1, vcc
	s_branch .LBB3_413
.LBB3_410:                              ;   in Loop: Header=BB3_413 Depth=3
	s_or_b64 exec, exec, s[22:23]
	v_readfirstlane_b32 s22, v1
	s_cmp_eq_u32 s22, 0
	s_cbranch_scc1 .LBB3_412
; %bb.411:                              ;   in Loop: Header=BB3_413 Depth=3
	s_sleep 1
	s_cbranch_execnz .LBB3_413
	s_branch .LBB3_415
.LBB3_412:                              ;   in Loop: Header=BB3_338 Depth=2
	s_branch .LBB3_415
.LBB3_413:                              ;   Parent Loop BB3_5 Depth=1
                                        ;     Parent Loop BB3_338 Depth=2
                                        ; =>    This Inner Loop Header: Depth=3
	v_mov_b32_e32 v1, 1
	s_and_saveexec_b64 s[22:23], s[0:1]
	s_cbranch_execz .LBB3_410
; %bb.414:                              ;   in Loop: Header=BB3_413 Depth=3
	global_load_dword v1, v[40:41], off offset:20 glc
	s_waitcnt vmcnt(0)
	buffer_invl2
	buffer_wbinvl1_vol
	v_and_b32_e32 v1, 1, v1
	s_branch .LBB3_410
.LBB3_415:                              ;   in Loop: Header=BB3_338 Depth=2
	global_load_dwordx4 v[8:11], v[4:5], off
	s_and_saveexec_b64 s[22:23], s[0:1]
	s_cbranch_execz .LBB3_337
; %bb.416:                              ;   in Loop: Header=BB3_338 Depth=2
	global_load_dwordx2 v[4:5], v35, s[2:3] offset:40
	global_load_dwordx2 v[10:11], v35, s[2:3] offset:24 glc
	global_load_dwordx2 v[18:19], v35, s[2:3]
	v_mov_b32_e32 v1, s21
	s_waitcnt vmcnt(2)
	v_add_co_u32_e32 v2, vcc, 1, v4
	v_addc_co_u32_e32 v17, vcc, 0, v5, vcc
	v_add_co_u32_e32 v14, vcc, s20, v2
	v_addc_co_u32_e32 v15, vcc, v17, v1, vcc
	v_cmp_eq_u64_e32 vcc, 0, v[14:15]
	v_cndmask_b32_e32 v15, v15, v17, vcc
	v_cndmask_b32_e32 v14, v14, v2, vcc
	v_and_b32_e32 v1, v15, v5
	v_and_b32_e32 v2, v14, v4
	v_mul_lo_u32 v1, v1, 24
	v_mul_hi_u32 v4, v2, 24
	v_mul_lo_u32 v2, v2, 24
	v_add_u32_e32 v1, v4, v1
	s_waitcnt vmcnt(0)
	v_add_co_u32_e32 v4, vcc, v18, v2
	v_addc_co_u32_e32 v5, vcc, v19, v1, vcc
	v_mov_b32_e32 v16, v10
	global_store_dwordx2 v[4:5], v[10:11], off
	v_mov_b32_e32 v17, v11
	buffer_wbl2
	s_waitcnt vmcnt(0)
	global_atomic_cmpswap_x2 v[16:17], v35, v[14:17], s[2:3] offset:24 glc
	s_waitcnt vmcnt(0)
	v_cmp_ne_u64_e32 vcc, v[16:17], v[10:11]
	s_and_b64 exec, exec, vcc
	s_cbranch_execz .LBB3_337
; %bb.417:                              ;   in Loop: Header=BB3_338 Depth=2
	s_mov_b64 s[0:1], 0
.LBB3_418:                              ;   Parent Loop BB3_5 Depth=1
                                        ;     Parent Loop BB3_338 Depth=2
                                        ; =>    This Inner Loop Header: Depth=3
	s_sleep 1
	global_store_dwordx2 v[4:5], v[16:17], off
	buffer_wbl2
	s_waitcnt vmcnt(0)
	global_atomic_cmpswap_x2 v[10:11], v35, v[14:17], s[2:3] offset:24 glc
	s_waitcnt vmcnt(0)
	v_cmp_eq_u64_e32 vcc, v[10:11], v[16:17]
	s_or_b64 s[0:1], vcc, s[0:1]
	v_pk_mov_b32 v[16:17], v[10:11], v[10:11] op_sel:[0,1]
	s_andn2_b64 exec, exec, s[0:1]
	s_cbranch_execnz .LBB3_418
	s_branch .LBB3_337
.LBB3_419:                              ;   in Loop: Header=BB3_5 Depth=1
.LBB3_420:                              ;   in Loop: Header=BB3_5 Depth=1
	s_and_b64 vcc, exec, s[12:13]
	s_cbranch_vccz .LBB3_533
.LBB3_421:                              ;   in Loop: Header=BB3_5 Depth=1
	s_waitcnt vmcnt(0)
	v_and_b32_e32 v38, 2, v8
	v_and_b32_e32 v10, -3, v8
	v_mov_b32_e32 v11, v9
	s_mov_b64 s[16:17], 56
	s_getpc_b64 s[14:15]
	s_add_u32 s14, s14, .str.4@rel32@lo+4
	s_addc_u32 s15, s15, .str.4@rel32@hi+12
	s_branch .LBB3_423
.LBB3_422:                              ;   in Loop: Header=BB3_423 Depth=2
	s_or_b64 exec, exec, s[22:23]
	s_sub_u32 s16, s16, s18
	s_subb_u32 s17, s17, s19
	s_add_u32 s14, s14, s18
	s_addc_u32 s15, s15, s19
	s_cmp_lg_u64 s[16:17], 0
	s_cbranch_scc0 .LBB3_504
.LBB3_423:                              ;   Parent Loop BB3_5 Depth=1
                                        ; =>  This Loop Header: Depth=2
                                        ;       Child Loop BB3_426 Depth 3
                                        ;       Child Loop BB3_433 Depth 3
	;; [unrolled: 1-line block ×11, first 2 shown]
	v_cmp_lt_u64_e64 s[0:1], s[16:17], 56
	s_and_b64 s[0:1], s[0:1], exec
	v_cmp_gt_u64_e64 s[0:1], s[16:17], 7
	s_cselect_b32 s19, s17, 0
	s_cselect_b32 s18, s16, 56
	s_and_b64 vcc, exec, s[0:1]
	s_cbranch_vccnz .LBB3_428
; %bb.424:                              ;   in Loop: Header=BB3_423 Depth=2
	s_mov_b64 s[0:1], 0
	s_cmp_eq_u64 s[16:17], 0
	s_waitcnt vmcnt(0)
	v_pk_mov_b32 v[12:13], 0, 0
	s_cbranch_scc1 .LBB3_427
; %bb.425:                              ;   in Loop: Header=BB3_423 Depth=2
	s_lshl_b64 s[20:21], s[18:19], 3
	s_mov_b64 s[22:23], 0
	v_pk_mov_b32 v[12:13], 0, 0
	s_mov_b64 s[24:25], s[14:15]
.LBB3_426:                              ;   Parent Loop BB3_5 Depth=1
                                        ;     Parent Loop BB3_423 Depth=2
                                        ; =>    This Inner Loop Header: Depth=3
	global_load_ubyte v1, v35, s[24:25]
	s_waitcnt vmcnt(0)
	v_and_b32_e32 v34, 0xffff, v1
	v_lshlrev_b64 v[4:5], s22, v[34:35]
	s_add_u32 s22, s22, 8
	s_addc_u32 s23, s23, 0
	s_add_u32 s24, s24, 1
	s_addc_u32 s25, s25, 0
	v_or_b32_e32 v12, v4, v12
	s_cmp_lg_u32 s20, s22
	v_or_b32_e32 v13, v5, v13
	s_cbranch_scc1 .LBB3_426
.LBB3_427:                              ;   in Loop: Header=BB3_423 Depth=2
	s_mov_b32 s24, 0
	s_andn2_b64 vcc, exec, s[0:1]
	s_mov_b64 s[0:1], s[14:15]
	s_cbranch_vccz .LBB3_429
	s_branch .LBB3_430
.LBB3_428:                              ;   in Loop: Header=BB3_423 Depth=2
                                        ; implicit-def: $vgpr12_vgpr13
                                        ; implicit-def: $sgpr24
	s_mov_b64 s[0:1], s[14:15]
.LBB3_429:                              ;   in Loop: Header=BB3_423 Depth=2
	global_load_dwordx2 v[12:13], v35, s[14:15]
	s_add_i32 s24, s18, -8
	s_add_u32 s0, s14, 8
	s_addc_u32 s1, s15, 0
.LBB3_430:                              ;   in Loop: Header=BB3_423 Depth=2
	s_cmp_gt_u32 s24, 7
	s_cbranch_scc1 .LBB3_434
; %bb.431:                              ;   in Loop: Header=BB3_423 Depth=2
	s_cmp_eq_u32 s24, 0
	s_cbranch_scc1 .LBB3_435
; %bb.432:                              ;   in Loop: Header=BB3_423 Depth=2
	s_mov_b64 s[20:21], 0
	v_pk_mov_b32 v[14:15], 0, 0
	s_mov_b64 s[22:23], 0
.LBB3_433:                              ;   Parent Loop BB3_5 Depth=1
                                        ;     Parent Loop BB3_423 Depth=2
                                        ; =>    This Inner Loop Header: Depth=3
	s_add_u32 s26, s0, s22
	s_addc_u32 s27, s1, s23
	global_load_ubyte v1, v35, s[26:27]
	s_add_u32 s22, s22, 1
	s_addc_u32 s23, s23, 0
	s_waitcnt vmcnt(0)
	v_and_b32_e32 v34, 0xffff, v1
	v_lshlrev_b64 v[4:5], s20, v[34:35]
	s_add_u32 s20, s20, 8
	s_addc_u32 s21, s21, 0
	v_or_b32_e32 v14, v4, v14
	s_cmp_lg_u32 s24, s22
	v_or_b32_e32 v15, v5, v15
	s_cbranch_scc1 .LBB3_433
	s_branch .LBB3_436
.LBB3_434:                              ;   in Loop: Header=BB3_423 Depth=2
                                        ; implicit-def: $vgpr14_vgpr15
                                        ; implicit-def: $sgpr25
	s_branch .LBB3_437
.LBB3_435:                              ;   in Loop: Header=BB3_423 Depth=2
	v_pk_mov_b32 v[14:15], 0, 0
.LBB3_436:                              ;   in Loop: Header=BB3_423 Depth=2
	s_mov_b32 s25, 0
	s_cbranch_execnz .LBB3_438
.LBB3_437:                              ;   in Loop: Header=BB3_423 Depth=2
	global_load_dwordx2 v[14:15], v35, s[0:1]
	s_add_i32 s25, s24, -8
	s_add_u32 s0, s0, 8
	s_addc_u32 s1, s1, 0
.LBB3_438:                              ;   in Loop: Header=BB3_423 Depth=2
	s_cmp_gt_u32 s25, 7
	s_cbranch_scc1 .LBB3_442
; %bb.439:                              ;   in Loop: Header=BB3_423 Depth=2
	s_cmp_eq_u32 s25, 0
	s_cbranch_scc1 .LBB3_443
; %bb.440:                              ;   in Loop: Header=BB3_423 Depth=2
	s_mov_b64 s[20:21], 0
	v_pk_mov_b32 v[16:17], 0, 0
	s_mov_b64 s[22:23], 0
.LBB3_441:                              ;   Parent Loop BB3_5 Depth=1
                                        ;     Parent Loop BB3_423 Depth=2
                                        ; =>    This Inner Loop Header: Depth=3
	s_add_u32 s26, s0, s22
	s_addc_u32 s27, s1, s23
	global_load_ubyte v1, v35, s[26:27]
	s_add_u32 s22, s22, 1
	s_addc_u32 s23, s23, 0
	s_waitcnt vmcnt(0)
	v_and_b32_e32 v34, 0xffff, v1
	v_lshlrev_b64 v[4:5], s20, v[34:35]
	s_add_u32 s20, s20, 8
	s_addc_u32 s21, s21, 0
	v_or_b32_e32 v16, v4, v16
	s_cmp_lg_u32 s25, s22
	v_or_b32_e32 v17, v5, v17
	s_cbranch_scc1 .LBB3_441
	s_branch .LBB3_444
.LBB3_442:                              ;   in Loop: Header=BB3_423 Depth=2
                                        ; implicit-def: $sgpr24
	s_branch .LBB3_445
.LBB3_443:                              ;   in Loop: Header=BB3_423 Depth=2
	v_pk_mov_b32 v[16:17], 0, 0
.LBB3_444:                              ;   in Loop: Header=BB3_423 Depth=2
	s_mov_b32 s24, 0
	s_cbranch_execnz .LBB3_446
.LBB3_445:                              ;   in Loop: Header=BB3_423 Depth=2
	global_load_dwordx2 v[16:17], v35, s[0:1]
	s_add_i32 s24, s25, -8
	s_add_u32 s0, s0, 8
	s_addc_u32 s1, s1, 0
.LBB3_446:                              ;   in Loop: Header=BB3_423 Depth=2
	s_cmp_gt_u32 s24, 7
	s_cbranch_scc1 .LBB3_450
; %bb.447:                              ;   in Loop: Header=BB3_423 Depth=2
	s_cmp_eq_u32 s24, 0
	s_cbranch_scc1 .LBB3_451
; %bb.448:                              ;   in Loop: Header=BB3_423 Depth=2
	s_mov_b64 s[20:21], 0
	v_pk_mov_b32 v[18:19], 0, 0
	s_mov_b64 s[22:23], 0
.LBB3_449:                              ;   Parent Loop BB3_5 Depth=1
                                        ;     Parent Loop BB3_423 Depth=2
                                        ; =>    This Inner Loop Header: Depth=3
	s_add_u32 s26, s0, s22
	s_addc_u32 s27, s1, s23
	global_load_ubyte v1, v35, s[26:27]
	s_add_u32 s22, s22, 1
	s_addc_u32 s23, s23, 0
	s_waitcnt vmcnt(0)
	v_and_b32_e32 v34, 0xffff, v1
	v_lshlrev_b64 v[4:5], s20, v[34:35]
	s_add_u32 s20, s20, 8
	s_addc_u32 s21, s21, 0
	v_or_b32_e32 v18, v4, v18
	s_cmp_lg_u32 s24, s22
	v_or_b32_e32 v19, v5, v19
	s_cbranch_scc1 .LBB3_449
	s_branch .LBB3_452
.LBB3_450:                              ;   in Loop: Header=BB3_423 Depth=2
                                        ; implicit-def: $vgpr18_vgpr19
                                        ; implicit-def: $sgpr25
	s_branch .LBB3_453
.LBB3_451:                              ;   in Loop: Header=BB3_423 Depth=2
	v_pk_mov_b32 v[18:19], 0, 0
.LBB3_452:                              ;   in Loop: Header=BB3_423 Depth=2
	s_mov_b32 s25, 0
	s_cbranch_execnz .LBB3_454
.LBB3_453:                              ;   in Loop: Header=BB3_423 Depth=2
	global_load_dwordx2 v[18:19], v35, s[0:1]
	s_add_i32 s25, s24, -8
	s_add_u32 s0, s0, 8
	s_addc_u32 s1, s1, 0
.LBB3_454:                              ;   in Loop: Header=BB3_423 Depth=2
	s_cmp_gt_u32 s25, 7
	s_cbranch_scc1 .LBB3_458
; %bb.455:                              ;   in Loop: Header=BB3_423 Depth=2
	s_cmp_eq_u32 s25, 0
	s_cbranch_scc1 .LBB3_459
; %bb.456:                              ;   in Loop: Header=BB3_423 Depth=2
	s_mov_b64 s[20:21], 0
	v_pk_mov_b32 v[20:21], 0, 0
	s_mov_b64 s[22:23], 0
.LBB3_457:                              ;   Parent Loop BB3_5 Depth=1
                                        ;     Parent Loop BB3_423 Depth=2
                                        ; =>    This Inner Loop Header: Depth=3
	s_add_u32 s26, s0, s22
	s_addc_u32 s27, s1, s23
	global_load_ubyte v1, v35, s[26:27]
	s_add_u32 s22, s22, 1
	s_addc_u32 s23, s23, 0
	s_waitcnt vmcnt(0)
	v_and_b32_e32 v34, 0xffff, v1
	v_lshlrev_b64 v[4:5], s20, v[34:35]
	s_add_u32 s20, s20, 8
	s_addc_u32 s21, s21, 0
	v_or_b32_e32 v20, v4, v20
	s_cmp_lg_u32 s25, s22
	v_or_b32_e32 v21, v5, v21
	s_cbranch_scc1 .LBB3_457
	s_branch .LBB3_460
.LBB3_458:                              ;   in Loop: Header=BB3_423 Depth=2
                                        ; implicit-def: $sgpr24
	s_branch .LBB3_461
.LBB3_459:                              ;   in Loop: Header=BB3_423 Depth=2
	v_pk_mov_b32 v[20:21], 0, 0
.LBB3_460:                              ;   in Loop: Header=BB3_423 Depth=2
	s_mov_b32 s24, 0
	s_cbranch_execnz .LBB3_462
.LBB3_461:                              ;   in Loop: Header=BB3_423 Depth=2
	global_load_dwordx2 v[20:21], v35, s[0:1]
	s_add_i32 s24, s25, -8
	s_add_u32 s0, s0, 8
	s_addc_u32 s1, s1, 0
.LBB3_462:                              ;   in Loop: Header=BB3_423 Depth=2
	s_cmp_gt_u32 s24, 7
	s_cbranch_scc1 .LBB3_466
; %bb.463:                              ;   in Loop: Header=BB3_423 Depth=2
	s_cmp_eq_u32 s24, 0
	s_cbranch_scc1 .LBB3_467
; %bb.464:                              ;   in Loop: Header=BB3_423 Depth=2
	s_mov_b64 s[20:21], 0
	v_pk_mov_b32 v[22:23], 0, 0
	s_mov_b64 s[22:23], 0
.LBB3_465:                              ;   Parent Loop BB3_5 Depth=1
                                        ;     Parent Loop BB3_423 Depth=2
                                        ; =>    This Inner Loop Header: Depth=3
	s_add_u32 s26, s0, s22
	s_addc_u32 s27, s1, s23
	global_load_ubyte v1, v35, s[26:27]
	s_add_u32 s22, s22, 1
	s_addc_u32 s23, s23, 0
	s_waitcnt vmcnt(0)
	v_and_b32_e32 v34, 0xffff, v1
	v_lshlrev_b64 v[4:5], s20, v[34:35]
	s_add_u32 s20, s20, 8
	s_addc_u32 s21, s21, 0
	v_or_b32_e32 v22, v4, v22
	s_cmp_lg_u32 s24, s22
	v_or_b32_e32 v23, v5, v23
	s_cbranch_scc1 .LBB3_465
	s_branch .LBB3_468
.LBB3_466:                              ;   in Loop: Header=BB3_423 Depth=2
                                        ; implicit-def: $vgpr22_vgpr23
                                        ; implicit-def: $sgpr25
	s_branch .LBB3_469
.LBB3_467:                              ;   in Loop: Header=BB3_423 Depth=2
	v_pk_mov_b32 v[22:23], 0, 0
.LBB3_468:                              ;   in Loop: Header=BB3_423 Depth=2
	s_mov_b32 s25, 0
	s_cbranch_execnz .LBB3_470
.LBB3_469:                              ;   in Loop: Header=BB3_423 Depth=2
	global_load_dwordx2 v[22:23], v35, s[0:1]
	s_add_i32 s25, s24, -8
	s_add_u32 s0, s0, 8
	s_addc_u32 s1, s1, 0
.LBB3_470:                              ;   in Loop: Header=BB3_423 Depth=2
	s_cmp_gt_u32 s25, 7
	s_cbranch_scc1 .LBB3_474
; %bb.471:                              ;   in Loop: Header=BB3_423 Depth=2
	s_cmp_eq_u32 s25, 0
	s_cbranch_scc1 .LBB3_475
; %bb.472:                              ;   in Loop: Header=BB3_423 Depth=2
	s_mov_b64 s[20:21], 0
	v_pk_mov_b32 v[24:25], 0, 0
	s_mov_b64 s[22:23], s[0:1]
.LBB3_473:                              ;   Parent Loop BB3_5 Depth=1
                                        ;     Parent Loop BB3_423 Depth=2
                                        ; =>    This Inner Loop Header: Depth=3
	global_load_ubyte v1, v35, s[22:23]
	s_add_i32 s25, s25, -1
	s_waitcnt vmcnt(0)
	v_and_b32_e32 v34, 0xffff, v1
	v_lshlrev_b64 v[4:5], s20, v[34:35]
	s_add_u32 s20, s20, 8
	s_addc_u32 s21, s21, 0
	s_add_u32 s22, s22, 1
	s_addc_u32 s23, s23, 0
	v_or_b32_e32 v24, v4, v24
	s_cmp_lg_u32 s25, 0
	v_or_b32_e32 v25, v5, v25
	s_cbranch_scc1 .LBB3_473
	s_branch .LBB3_476
.LBB3_474:                              ;   in Loop: Header=BB3_423 Depth=2
	s_branch .LBB3_477
.LBB3_475:                              ;   in Loop: Header=BB3_423 Depth=2
	v_pk_mov_b32 v[24:25], 0, 0
.LBB3_476:                              ;   in Loop: Header=BB3_423 Depth=2
	s_cbranch_execnz .LBB3_478
.LBB3_477:                              ;   in Loop: Header=BB3_423 Depth=2
	global_load_dwordx2 v[24:25], v35, s[0:1]
.LBB3_478:                              ;   in Loop: Header=BB3_423 Depth=2
	v_readfirstlane_b32 s0, v32
	v_cmp_eq_u32_e64 s[0:1], s0, v32
	v_pk_mov_b32 v[4:5], 0, 0
	s_and_saveexec_b64 s[20:21], s[0:1]
	s_cbranch_execz .LBB3_484
; %bb.479:                              ;   in Loop: Header=BB3_423 Depth=2
	global_load_dwordx2 v[28:29], v35, s[2:3] offset:24 glc
	s_waitcnt vmcnt(0)
	buffer_invl2
	buffer_wbinvl1_vol
	global_load_dwordx2 v[4:5], v35, s[2:3] offset:40
	global_load_dwordx2 v[26:27], v35, s[2:3]
	s_waitcnt vmcnt(1)
	v_and_b32_e32 v1, v4, v28
	v_and_b32_e32 v2, v5, v29
	v_mul_lo_u32 v2, v2, 24
	v_mul_hi_u32 v4, v1, 24
	v_mul_lo_u32 v1, v1, 24
	v_add_u32_e32 v2, v4, v2
	s_waitcnt vmcnt(0)
	v_add_co_u32_e32 v4, vcc, v26, v1
	v_addc_co_u32_e32 v5, vcc, v27, v2, vcc
	global_load_dwordx2 v[26:27], v[4:5], off glc
	s_waitcnt vmcnt(0)
	global_atomic_cmpswap_x2 v[4:5], v35, v[26:29], s[2:3] offset:24 glc
	s_waitcnt vmcnt(0)
	buffer_invl2
	buffer_wbinvl1_vol
	v_cmp_ne_u64_e32 vcc, v[4:5], v[28:29]
	s_and_saveexec_b64 s[22:23], vcc
	s_cbranch_execz .LBB3_483
; %bb.480:                              ;   in Loop: Header=BB3_423 Depth=2
	s_mov_b64 s[24:25], 0
.LBB3_481:                              ;   Parent Loop BB3_5 Depth=1
                                        ;     Parent Loop BB3_423 Depth=2
                                        ; =>    This Inner Loop Header: Depth=3
	s_sleep 1
	global_load_dwordx2 v[26:27], v35, s[2:3] offset:40
	global_load_dwordx2 v[40:41], v35, s[2:3]
	v_pk_mov_b32 v[28:29], v[4:5], v[4:5] op_sel:[0,1]
	s_waitcnt vmcnt(1)
	v_and_b32_e32 v2, v26, v28
	s_waitcnt vmcnt(0)
	v_mad_u64_u32 v[4:5], s[26:27], v2, 24, v[40:41]
	v_and_b32_e32 v1, v27, v29
	v_mov_b32_e32 v2, v5
	v_mad_u64_u32 v[26:27], s[26:27], v1, 24, v[2:3]
	v_mov_b32_e32 v5, v26
	global_load_dwordx2 v[26:27], v[4:5], off glc
	s_waitcnt vmcnt(0)
	global_atomic_cmpswap_x2 v[4:5], v35, v[26:29], s[2:3] offset:24 glc
	s_waitcnt vmcnt(0)
	buffer_invl2
	buffer_wbinvl1_vol
	v_cmp_eq_u64_e32 vcc, v[4:5], v[28:29]
	s_or_b64 s[24:25], vcc, s[24:25]
	s_andn2_b64 exec, exec, s[24:25]
	s_cbranch_execnz .LBB3_481
; %bb.482:                              ;   in Loop: Header=BB3_423 Depth=2
	s_or_b64 exec, exec, s[24:25]
.LBB3_483:                              ;   in Loop: Header=BB3_423 Depth=2
	s_or_b64 exec, exec, s[22:23]
.LBB3_484:                              ;   in Loop: Header=BB3_423 Depth=2
	s_or_b64 exec, exec, s[20:21]
	global_load_dwordx2 v[40:41], v35, s[2:3] offset:40
	global_load_dwordx4 v[26:29], v35, s[2:3]
	v_readfirstlane_b32 s20, v4
	v_readfirstlane_b32 s21, v5
	s_mov_b64 s[22:23], exec
	s_waitcnt vmcnt(1)
	v_readfirstlane_b32 s24, v40
	v_readfirstlane_b32 s25, v41
	s_and_b64 s[24:25], s[20:21], s[24:25]
	s_mul_i32 s26, s25, 24
	s_mul_hi_u32 s27, s24, 24
	s_mul_i32 s33, s24, 24
	s_add_i32 s26, s27, s26
	v_mov_b32_e32 v1, s26
	s_waitcnt vmcnt(0)
	v_add_co_u32_e32 v40, vcc, s33, v26
	v_addc_co_u32_e32 v41, vcc, v27, v1, vcc
	s_and_saveexec_b64 s[26:27], s[0:1]
	s_cbranch_execz .LBB3_486
; %bb.485:                              ;   in Loop: Header=BB3_423 Depth=2
	v_pk_mov_b32 v[4:5], s[22:23], s[22:23] op_sel:[0,1]
	global_store_dwordx4 v[40:41], v[4:7], off offset:8
.LBB3_486:                              ;   in Loop: Header=BB3_423 Depth=2
	s_or_b64 exec, exec, s[26:27]
	s_lshl_b64 s[22:23], s[24:25], 12
	v_mov_b32_e32 v1, s23
	v_add_co_u32_e32 v4, vcc, s22, v28
	v_addc_co_u32_e32 v1, vcc, v29, v1, vcc
	v_or_b32_e32 v2, 0, v11
	v_or_b32_e32 v5, v10, v38
	v_cmp_gt_u64_e64 vcc, s[16:17], 56
	s_lshl_b32 s22, s18, 2
	v_cndmask_b32_e32 v11, v2, v11, vcc
	v_cndmask_b32_e32 v2, v5, v10, vcc
	s_add_i32 s22, s22, 28
	s_and_b32 s22, s22, 0x1e0
	v_and_b32_e32 v2, 0xffffff1f, v2
	v_or_b32_e32 v10, s22, v2
	v_readfirstlane_b32 s22, v4
	v_readfirstlane_b32 s23, v1
	s_nop 4
	global_store_dwordx4 v46, v[10:13], s[22:23]
	global_store_dwordx4 v46, v[14:17], s[22:23] offset:16
	global_store_dwordx4 v46, v[18:21], s[22:23] offset:32
	;; [unrolled: 1-line block ×3, first 2 shown]
	s_and_saveexec_b64 s[22:23], s[0:1]
	s_cbranch_execz .LBB3_494
; %bb.487:                              ;   in Loop: Header=BB3_423 Depth=2
	global_load_dwordx2 v[18:19], v35, s[2:3] offset:32 glc
	global_load_dwordx2 v[10:11], v35, s[2:3] offset:40
	v_mov_b32_e32 v16, s20
	v_mov_b32_e32 v17, s21
	s_waitcnt vmcnt(0)
	v_readfirstlane_b32 s24, v10
	v_readfirstlane_b32 s25, v11
	s_and_b64 s[24:25], s[24:25], s[20:21]
	s_mul_i32 s25, s25, 24
	s_mul_hi_u32 s26, s24, 24
	s_mul_i32 s24, s24, 24
	s_add_i32 s25, s26, s25
	v_mov_b32_e32 v2, s25
	v_add_co_u32_e32 v14, vcc, s24, v26
	v_addc_co_u32_e32 v15, vcc, v27, v2, vcc
	global_store_dwordx2 v[14:15], v[18:19], off
	buffer_wbl2
	s_waitcnt vmcnt(0)
	global_atomic_cmpswap_x2 v[12:13], v35, v[16:19], s[2:3] offset:32 glc
	s_waitcnt vmcnt(0)
	v_cmp_ne_u64_e32 vcc, v[12:13], v[18:19]
	s_and_saveexec_b64 s[24:25], vcc
	s_cbranch_execz .LBB3_490
; %bb.488:                              ;   in Loop: Header=BB3_423 Depth=2
	s_mov_b64 s[26:27], 0
.LBB3_489:                              ;   Parent Loop BB3_5 Depth=1
                                        ;     Parent Loop BB3_423 Depth=2
                                        ; =>    This Inner Loop Header: Depth=3
	s_sleep 1
	global_store_dwordx2 v[14:15], v[12:13], off
	v_mov_b32_e32 v10, s20
	v_mov_b32_e32 v11, s21
	buffer_wbl2
	s_waitcnt vmcnt(0)
	global_atomic_cmpswap_x2 v[10:11], v35, v[10:13], s[2:3] offset:32 glc
	s_waitcnt vmcnt(0)
	v_cmp_eq_u64_e32 vcc, v[10:11], v[12:13]
	s_or_b64 s[26:27], vcc, s[26:27]
	v_pk_mov_b32 v[12:13], v[10:11], v[10:11] op_sel:[0,1]
	s_andn2_b64 exec, exec, s[26:27]
	s_cbranch_execnz .LBB3_489
.LBB3_490:                              ;   in Loop: Header=BB3_423 Depth=2
	s_or_b64 exec, exec, s[24:25]
	global_load_dwordx2 v[10:11], v35, s[2:3] offset:16
	s_mov_b64 s[26:27], exec
	v_mbcnt_lo_u32_b32 v2, s26, 0
	v_mbcnt_hi_u32_b32 v2, s27, v2
	v_cmp_eq_u32_e32 vcc, 0, v2
	s_and_saveexec_b64 s[24:25], vcc
	s_cbranch_execz .LBB3_492
; %bb.491:                              ;   in Loop: Header=BB3_423 Depth=2
	s_bcnt1_i32_b64 s26, s[26:27]
	v_mov_b32_e32 v2, s26
	buffer_wbl2
	s_waitcnt vmcnt(0)
	global_atomic_add_x2 v[10:11], v[2:3], off offset:8
.LBB3_492:                              ;   in Loop: Header=BB3_423 Depth=2
	s_or_b64 exec, exec, s[24:25]
	s_waitcnt vmcnt(0)
	global_load_dwordx2 v[12:13], v[10:11], off offset:16
	s_waitcnt vmcnt(0)
	v_cmp_eq_u64_e32 vcc, 0, v[12:13]
	s_cbranch_vccnz .LBB3_494
; %bb.493:                              ;   in Loop: Header=BB3_423 Depth=2
	global_load_dword v34, v[10:11], off offset:24
	s_waitcnt vmcnt(0)
	v_and_b32_e32 v2, 0xffffff, v34
	v_readfirstlane_b32 m0, v2
	buffer_wbl2
	global_store_dwordx2 v[12:13], v[34:35], off
	s_sendmsg sendmsg(MSG_INTERRUPT)
.LBB3_494:                              ;   in Loop: Header=BB3_423 Depth=2
	s_or_b64 exec, exec, s[22:23]
	v_add_co_u32_e32 v4, vcc, v4, v46
	v_addc_co_u32_e32 v5, vcc, 0, v1, vcc
	s_branch .LBB3_498
.LBB3_495:                              ;   in Loop: Header=BB3_498 Depth=3
	s_or_b64 exec, exec, s[22:23]
	v_readfirstlane_b32 s22, v1
	s_cmp_eq_u32 s22, 0
	s_cbranch_scc1 .LBB3_497
; %bb.496:                              ;   in Loop: Header=BB3_498 Depth=3
	s_sleep 1
	s_cbranch_execnz .LBB3_498
	s_branch .LBB3_500
.LBB3_497:                              ;   in Loop: Header=BB3_423 Depth=2
	s_branch .LBB3_500
.LBB3_498:                              ;   Parent Loop BB3_5 Depth=1
                                        ;     Parent Loop BB3_423 Depth=2
                                        ; =>    This Inner Loop Header: Depth=3
	v_mov_b32_e32 v1, 1
	s_and_saveexec_b64 s[22:23], s[0:1]
	s_cbranch_execz .LBB3_495
; %bb.499:                              ;   in Loop: Header=BB3_498 Depth=3
	global_load_dword v1, v[40:41], off offset:20 glc
	s_waitcnt vmcnt(0)
	buffer_invl2
	buffer_wbinvl1_vol
	v_and_b32_e32 v1, 1, v1
	s_branch .LBB3_495
.LBB3_500:                              ;   in Loop: Header=BB3_423 Depth=2
	global_load_dwordx4 v[10:13], v[4:5], off
	s_and_saveexec_b64 s[22:23], s[0:1]
	s_cbranch_execz .LBB3_422
; %bb.501:                              ;   in Loop: Header=BB3_423 Depth=2
	global_load_dwordx2 v[4:5], v35, s[2:3] offset:40
	global_load_dwordx2 v[16:17], v35, s[2:3] offset:24 glc
	global_load_dwordx2 v[18:19], v35, s[2:3]
	v_mov_b32_e32 v1, s21
	s_waitcnt vmcnt(2)
	v_add_co_u32_e32 v2, vcc, 1, v4
	v_addc_co_u32_e32 v15, vcc, 0, v5, vcc
	v_add_co_u32_e32 v12, vcc, s20, v2
	v_addc_co_u32_e32 v13, vcc, v15, v1, vcc
	v_cmp_eq_u64_e32 vcc, 0, v[12:13]
	v_cndmask_b32_e32 v13, v13, v15, vcc
	v_cndmask_b32_e32 v12, v12, v2, vcc
	v_and_b32_e32 v1, v13, v5
	v_and_b32_e32 v2, v12, v4
	v_mul_lo_u32 v1, v1, 24
	v_mul_hi_u32 v4, v2, 24
	v_mul_lo_u32 v2, v2, 24
	v_add_u32_e32 v1, v4, v1
	s_waitcnt vmcnt(0)
	v_add_co_u32_e32 v4, vcc, v18, v2
	v_addc_co_u32_e32 v5, vcc, v19, v1, vcc
	v_mov_b32_e32 v14, v16
	global_store_dwordx2 v[4:5], v[16:17], off
	v_mov_b32_e32 v15, v17
	buffer_wbl2
	s_waitcnt vmcnt(0)
	global_atomic_cmpswap_x2 v[14:15], v35, v[12:15], s[2:3] offset:24 glc
	s_waitcnt vmcnt(0)
	v_cmp_ne_u64_e32 vcc, v[14:15], v[16:17]
	s_and_b64 exec, exec, vcc
	s_cbranch_execz .LBB3_422
; %bb.502:                              ;   in Loop: Header=BB3_423 Depth=2
	s_mov_b64 s[0:1], 0
.LBB3_503:                              ;   Parent Loop BB3_5 Depth=1
                                        ;     Parent Loop BB3_423 Depth=2
                                        ; =>    This Inner Loop Header: Depth=3
	s_sleep 1
	global_store_dwordx2 v[4:5], v[14:15], off
	buffer_wbl2
	s_waitcnt vmcnt(0)
	global_atomic_cmpswap_x2 v[16:17], v35, v[12:15], s[2:3] offset:24 glc
	s_waitcnt vmcnt(0)
	v_cmp_eq_u64_e32 vcc, v[16:17], v[14:15]
	s_or_b64 s[0:1], vcc, s[0:1]
	v_pk_mov_b32 v[14:15], v[16:17], v[16:17] op_sel:[0,1]
	s_andn2_b64 exec, exec, s[0:1]
	s_cbranch_execnz .LBB3_503
	s_branch .LBB3_422
.LBB3_504:                              ;   in Loop: Header=BB3_5 Depth=1
	s_branch .LBB3_561
.LBB3_505:                              ;   in Loop: Header=BB3_5 Depth=1
                                        ; implicit-def: $vgpr8_vgpr9
	s_cbranch_execz .LBB3_420
; %bb.506:                              ;   in Loop: Header=BB3_5 Depth=1
	v_readfirstlane_b32 s0, v32
	v_cmp_eq_u32_e64 s[0:1], s0, v32
	v_pk_mov_b32 v[4:5], 0, 0
	s_and_saveexec_b64 s[14:15], s[0:1]
	s_cbranch_execz .LBB3_512
; %bb.507:                              ;   in Loop: Header=BB3_5 Depth=1
	global_load_dwordx2 v[10:11], v35, s[2:3] offset:24 glc
	s_waitcnt vmcnt(0)
	buffer_invl2
	buffer_wbinvl1_vol
	global_load_dwordx2 v[4:5], v35, s[2:3] offset:40
	global_load_dwordx2 v[8:9], v35, s[2:3]
	s_waitcnt vmcnt(1)
	v_and_b32_e32 v1, v4, v10
	v_and_b32_e32 v2, v5, v11
	v_mul_lo_u32 v2, v2, 24
	v_mul_hi_u32 v4, v1, 24
	v_mul_lo_u32 v1, v1, 24
	v_add_u32_e32 v2, v4, v2
	s_waitcnt vmcnt(0)
	v_add_co_u32_e32 v4, vcc, v8, v1
	v_addc_co_u32_e32 v5, vcc, v9, v2, vcc
	global_load_dwordx2 v[8:9], v[4:5], off glc
	s_waitcnt vmcnt(0)
	global_atomic_cmpswap_x2 v[4:5], v35, v[8:11], s[2:3] offset:24 glc
	s_waitcnt vmcnt(0)
	buffer_invl2
	buffer_wbinvl1_vol
	v_cmp_ne_u64_e32 vcc, v[4:5], v[10:11]
	s_and_saveexec_b64 s[16:17], vcc
	s_cbranch_execz .LBB3_511
; %bb.508:                              ;   in Loop: Header=BB3_5 Depth=1
	s_mov_b64 s[18:19], 0
.LBB3_509:                              ;   Parent Loop BB3_5 Depth=1
                                        ; =>  This Inner Loop Header: Depth=2
	s_sleep 1
	global_load_dwordx2 v[8:9], v35, s[2:3] offset:40
	global_load_dwordx2 v[14:15], v35, s[2:3]
	v_pk_mov_b32 v[10:11], v[4:5], v[4:5] op_sel:[0,1]
	s_waitcnt vmcnt(1)
	v_and_b32_e32 v2, v8, v10
	s_waitcnt vmcnt(0)
	v_mad_u64_u32 v[4:5], s[20:21], v2, 24, v[14:15]
	v_and_b32_e32 v1, v9, v11
	v_mov_b32_e32 v2, v5
	v_mad_u64_u32 v[8:9], s[20:21], v1, 24, v[2:3]
	v_mov_b32_e32 v5, v8
	global_load_dwordx2 v[8:9], v[4:5], off glc
	s_waitcnt vmcnt(0)
	global_atomic_cmpswap_x2 v[4:5], v35, v[8:11], s[2:3] offset:24 glc
	s_waitcnt vmcnt(0)
	buffer_invl2
	buffer_wbinvl1_vol
	v_cmp_eq_u64_e32 vcc, v[4:5], v[10:11]
	s_or_b64 s[18:19], vcc, s[18:19]
	s_andn2_b64 exec, exec, s[18:19]
	s_cbranch_execnz .LBB3_509
; %bb.510:                              ;   in Loop: Header=BB3_5 Depth=1
	s_or_b64 exec, exec, s[18:19]
.LBB3_511:                              ;   in Loop: Header=BB3_5 Depth=1
	s_or_b64 exec, exec, s[16:17]
.LBB3_512:                              ;   in Loop: Header=BB3_5 Depth=1
	s_or_b64 exec, exec, s[14:15]
	global_load_dwordx2 v[14:15], v35, s[2:3] offset:40
	global_load_dwordx4 v[8:11], v35, s[2:3]
	v_readfirstlane_b32 s14, v4
	v_readfirstlane_b32 s15, v5
	s_mov_b64 s[16:17], exec
	s_waitcnt vmcnt(1)
	v_readfirstlane_b32 s18, v14
	v_readfirstlane_b32 s19, v15
	s_and_b64 s[18:19], s[14:15], s[18:19]
	s_mul_i32 s20, s19, 24
	s_mul_hi_u32 s21, s18, 24
	s_mul_i32 s22, s18, 24
	s_add_i32 s20, s21, s20
	v_mov_b32_e32 v1, s20
	s_waitcnt vmcnt(0)
	v_add_co_u32_e32 v16, vcc, s22, v8
	v_addc_co_u32_e32 v17, vcc, v9, v1, vcc
	s_and_saveexec_b64 s[20:21], s[0:1]
	s_cbranch_execz .LBB3_514
; %bb.513:                              ;   in Loop: Header=BB3_5 Depth=1
	v_pk_mov_b32 v[4:5], s[16:17], s[16:17] op_sel:[0,1]
	global_store_dwordx4 v[16:17], v[4:7], off offset:8
.LBB3_514:                              ;   in Loop: Header=BB3_5 Depth=1
	s_or_b64 exec, exec, s[20:21]
	s_lshl_b64 s[16:17], s[18:19], 12
	v_mov_b32_e32 v1, s17
	v_add_co_u32_e32 v4, vcc, s16, v10
	v_addc_co_u32_e32 v1, vcc, v11, v1, vcc
	v_and_or_b32 v12, v12, s29, 32
	v_mov_b32_e32 v14, v3
	v_mov_b32_e32 v15, v3
	v_readfirstlane_b32 s16, v4
	v_readfirstlane_b32 s17, v1
	s_nop 4
	global_store_dwordx4 v46, v[12:15], s[16:17]
	s_nop 0
	v_pk_mov_b32 v[12:13], s[10:11], s[10:11] op_sel:[0,1]
	v_pk_mov_b32 v[10:11], s[8:9], s[8:9] op_sel:[0,1]
	global_store_dwordx4 v46, v[10:13], s[16:17] offset:16
	global_store_dwordx4 v46, v[10:13], s[16:17] offset:32
	;; [unrolled: 1-line block ×3, first 2 shown]
	s_and_saveexec_b64 s[16:17], s[0:1]
	s_cbranch_execz .LBB3_522
; %bb.515:                              ;   in Loop: Header=BB3_5 Depth=1
	global_load_dwordx2 v[20:21], v35, s[2:3] offset:32 glc
	global_load_dwordx2 v[10:11], v35, s[2:3] offset:40
	v_mov_b32_e32 v18, s14
	v_mov_b32_e32 v19, s15
	s_waitcnt vmcnt(0)
	v_readfirstlane_b32 s18, v10
	v_readfirstlane_b32 s19, v11
	s_and_b64 s[18:19], s[18:19], s[14:15]
	s_mul_i32 s19, s19, 24
	s_mul_hi_u32 s20, s18, 24
	s_mul_i32 s18, s18, 24
	s_add_i32 s19, s20, s19
	v_mov_b32_e32 v2, s19
	v_add_co_u32_e32 v12, vcc, s18, v8
	v_addc_co_u32_e32 v13, vcc, v9, v2, vcc
	global_store_dwordx2 v[12:13], v[20:21], off
	buffer_wbl2
	s_waitcnt vmcnt(0)
	global_atomic_cmpswap_x2 v[10:11], v35, v[18:21], s[2:3] offset:32 glc
	s_waitcnt vmcnt(0)
	v_cmp_ne_u64_e32 vcc, v[10:11], v[20:21]
	s_and_saveexec_b64 s[18:19], vcc
	s_cbranch_execz .LBB3_518
; %bb.516:                              ;   in Loop: Header=BB3_5 Depth=1
	s_mov_b64 s[20:21], 0
.LBB3_517:                              ;   Parent Loop BB3_5 Depth=1
                                        ; =>  This Inner Loop Header: Depth=2
	s_sleep 1
	global_store_dwordx2 v[12:13], v[10:11], off
	v_mov_b32_e32 v8, s14
	v_mov_b32_e32 v9, s15
	buffer_wbl2
	s_waitcnt vmcnt(0)
	global_atomic_cmpswap_x2 v[8:9], v35, v[8:11], s[2:3] offset:32 glc
	s_waitcnt vmcnt(0)
	v_cmp_eq_u64_e32 vcc, v[8:9], v[10:11]
	s_or_b64 s[20:21], vcc, s[20:21]
	v_pk_mov_b32 v[10:11], v[8:9], v[8:9] op_sel:[0,1]
	s_andn2_b64 exec, exec, s[20:21]
	s_cbranch_execnz .LBB3_517
.LBB3_518:                              ;   in Loop: Header=BB3_5 Depth=1
	s_or_b64 exec, exec, s[18:19]
	global_load_dwordx2 v[8:9], v35, s[2:3] offset:16
	s_mov_b64 s[20:21], exec
	v_mbcnt_lo_u32_b32 v2, s20, 0
	v_mbcnt_hi_u32_b32 v2, s21, v2
	v_cmp_eq_u32_e32 vcc, 0, v2
	s_and_saveexec_b64 s[18:19], vcc
	s_cbranch_execz .LBB3_520
; %bb.519:                              ;   in Loop: Header=BB3_5 Depth=1
	s_bcnt1_i32_b64 s20, s[20:21]
	v_mov_b32_e32 v2, s20
	buffer_wbl2
	s_waitcnt vmcnt(0)
	global_atomic_add_x2 v[8:9], v[2:3], off offset:8
.LBB3_520:                              ;   in Loop: Header=BB3_5 Depth=1
	s_or_b64 exec, exec, s[18:19]
	s_waitcnt vmcnt(0)
	global_load_dwordx2 v[10:11], v[8:9], off offset:16
	s_waitcnt vmcnt(0)
	v_cmp_eq_u64_e32 vcc, 0, v[10:11]
	s_cbranch_vccnz .LBB3_522
; %bb.521:                              ;   in Loop: Header=BB3_5 Depth=1
	global_load_dword v34, v[8:9], off offset:24
	s_waitcnt vmcnt(0)
	v_and_b32_e32 v2, 0xffffff, v34
	v_readfirstlane_b32 m0, v2
	buffer_wbl2
	global_store_dwordx2 v[10:11], v[34:35], off
	s_sendmsg sendmsg(MSG_INTERRUPT)
.LBB3_522:                              ;   in Loop: Header=BB3_5 Depth=1
	s_or_b64 exec, exec, s[16:17]
	v_add_co_u32_e32 v4, vcc, v4, v46
	v_addc_co_u32_e32 v5, vcc, 0, v1, vcc
	s_branch .LBB3_526
.LBB3_523:                              ;   in Loop: Header=BB3_526 Depth=2
	s_or_b64 exec, exec, s[16:17]
	v_readfirstlane_b32 s16, v1
	s_cmp_eq_u32 s16, 0
	s_cbranch_scc1 .LBB3_525
; %bb.524:                              ;   in Loop: Header=BB3_526 Depth=2
	s_sleep 1
	s_cbranch_execnz .LBB3_526
	s_branch .LBB3_528
.LBB3_525:                              ;   in Loop: Header=BB3_5 Depth=1
	s_branch .LBB3_528
.LBB3_526:                              ;   Parent Loop BB3_5 Depth=1
                                        ; =>  This Inner Loop Header: Depth=2
	v_mov_b32_e32 v1, 1
	s_and_saveexec_b64 s[16:17], s[0:1]
	s_cbranch_execz .LBB3_523
; %bb.527:                              ;   in Loop: Header=BB3_526 Depth=2
	global_load_dword v1, v[16:17], off offset:20 glc
	s_waitcnt vmcnt(0)
	buffer_invl2
	buffer_wbinvl1_vol
	v_and_b32_e32 v1, 1, v1
	s_branch .LBB3_523
.LBB3_528:                              ;   in Loop: Header=BB3_5 Depth=1
	global_load_dwordx2 v[8:9], v[4:5], off
	s_and_saveexec_b64 s[16:17], s[0:1]
	s_cbranch_execz .LBB3_532
; %bb.529:                              ;   in Loop: Header=BB3_5 Depth=1
	global_load_dwordx2 v[4:5], v35, s[2:3] offset:40
	global_load_dwordx2 v[14:15], v35, s[2:3] offset:24 glc
	global_load_dwordx2 v[16:17], v35, s[2:3]
	v_mov_b32_e32 v1, s15
	s_waitcnt vmcnt(2)
	v_add_co_u32_e32 v2, vcc, 1, v4
	v_addc_co_u32_e32 v13, vcc, 0, v5, vcc
	v_add_co_u32_e32 v10, vcc, s14, v2
	v_addc_co_u32_e32 v11, vcc, v13, v1, vcc
	v_cmp_eq_u64_e32 vcc, 0, v[10:11]
	v_cndmask_b32_e32 v11, v11, v13, vcc
	v_cndmask_b32_e32 v10, v10, v2, vcc
	v_and_b32_e32 v1, v11, v5
	v_and_b32_e32 v2, v10, v4
	v_mul_lo_u32 v1, v1, 24
	v_mul_hi_u32 v4, v2, 24
	v_mul_lo_u32 v2, v2, 24
	v_add_u32_e32 v1, v4, v1
	s_waitcnt vmcnt(0)
	v_add_co_u32_e32 v4, vcc, v16, v2
	v_addc_co_u32_e32 v5, vcc, v17, v1, vcc
	v_mov_b32_e32 v12, v14
	global_store_dwordx2 v[4:5], v[14:15], off
	v_mov_b32_e32 v13, v15
	buffer_wbl2
	s_waitcnt vmcnt(0)
	global_atomic_cmpswap_x2 v[12:13], v35, v[10:13], s[2:3] offset:24 glc
	s_waitcnt vmcnt(0)
	v_cmp_ne_u64_e32 vcc, v[12:13], v[14:15]
	s_and_b64 exec, exec, vcc
	s_cbranch_execz .LBB3_532
; %bb.530:                              ;   in Loop: Header=BB3_5 Depth=1
	s_mov_b64 s[0:1], 0
.LBB3_531:                              ;   Parent Loop BB3_5 Depth=1
                                        ; =>  This Inner Loop Header: Depth=2
	s_sleep 1
	global_store_dwordx2 v[4:5], v[12:13], off
	buffer_wbl2
	s_waitcnt vmcnt(0)
	global_atomic_cmpswap_x2 v[14:15], v35, v[10:13], s[2:3] offset:24 glc
	s_waitcnt vmcnt(0)
	v_cmp_eq_u64_e32 vcc, v[14:15], v[12:13]
	s_or_b64 s[0:1], vcc, s[0:1]
	v_pk_mov_b32 v[12:13], v[14:15], v[14:15] op_sel:[0,1]
	s_andn2_b64 exec, exec, s[0:1]
	s_cbranch_execnz .LBB3_531
.LBB3_532:                              ;   in Loop: Header=BB3_5 Depth=1
	s_or_b64 exec, exec, s[16:17]
	s_and_b64 vcc, exec, s[12:13]
	s_cbranch_vccnz .LBB3_421
.LBB3_533:                              ;   in Loop: Header=BB3_5 Depth=1
                                        ; implicit-def: $vgpr10_vgpr11
	s_cbranch_execz .LBB3_561
; %bb.534:                              ;   in Loop: Header=BB3_5 Depth=1
	v_readfirstlane_b32 s0, v32
	v_cmp_eq_u32_e64 s[0:1], s0, v32
	v_pk_mov_b32 v[4:5], 0, 0
	s_and_saveexec_b64 s[14:15], s[0:1]
	s_cbranch_execz .LBB3_540
; %bb.535:                              ;   in Loop: Header=BB3_5 Depth=1
	global_load_dwordx2 v[12:13], v35, s[2:3] offset:24 glc
	s_waitcnt vmcnt(0)
	buffer_invl2
	buffer_wbinvl1_vol
	global_load_dwordx2 v[4:5], v35, s[2:3] offset:40
	global_load_dwordx2 v[10:11], v35, s[2:3]
	s_waitcnt vmcnt(1)
	v_and_b32_e32 v1, v4, v12
	v_and_b32_e32 v2, v5, v13
	v_mul_lo_u32 v2, v2, 24
	v_mul_hi_u32 v4, v1, 24
	v_mul_lo_u32 v1, v1, 24
	v_add_u32_e32 v2, v4, v2
	s_waitcnt vmcnt(0)
	v_add_co_u32_e32 v4, vcc, v10, v1
	v_addc_co_u32_e32 v5, vcc, v11, v2, vcc
	global_load_dwordx2 v[10:11], v[4:5], off glc
	s_waitcnt vmcnt(0)
	global_atomic_cmpswap_x2 v[4:5], v35, v[10:13], s[2:3] offset:24 glc
	s_waitcnt vmcnt(0)
	buffer_invl2
	buffer_wbinvl1_vol
	v_cmp_ne_u64_e32 vcc, v[4:5], v[12:13]
	s_and_saveexec_b64 s[16:17], vcc
	s_cbranch_execz .LBB3_539
; %bb.536:                              ;   in Loop: Header=BB3_5 Depth=1
	s_mov_b64 s[18:19], 0
.LBB3_537:                              ;   Parent Loop BB3_5 Depth=1
                                        ; =>  This Inner Loop Header: Depth=2
	s_sleep 1
	global_load_dwordx2 v[10:11], v35, s[2:3] offset:40
	global_load_dwordx2 v[14:15], v35, s[2:3]
	v_pk_mov_b32 v[12:13], v[4:5], v[4:5] op_sel:[0,1]
	s_waitcnt vmcnt(1)
	v_and_b32_e32 v2, v10, v12
	s_waitcnt vmcnt(0)
	v_mad_u64_u32 v[4:5], s[20:21], v2, 24, v[14:15]
	v_and_b32_e32 v1, v11, v13
	v_mov_b32_e32 v2, v5
	v_mad_u64_u32 v[10:11], s[20:21], v1, 24, v[2:3]
	v_mov_b32_e32 v5, v10
	global_load_dwordx2 v[10:11], v[4:5], off glc
	s_waitcnt vmcnt(0)
	global_atomic_cmpswap_x2 v[4:5], v35, v[10:13], s[2:3] offset:24 glc
	s_waitcnt vmcnt(0)
	buffer_invl2
	buffer_wbinvl1_vol
	v_cmp_eq_u64_e32 vcc, v[4:5], v[12:13]
	s_or_b64 s[18:19], vcc, s[18:19]
	s_andn2_b64 exec, exec, s[18:19]
	s_cbranch_execnz .LBB3_537
; %bb.538:                              ;   in Loop: Header=BB3_5 Depth=1
	s_or_b64 exec, exec, s[18:19]
.LBB3_539:                              ;   in Loop: Header=BB3_5 Depth=1
	s_or_b64 exec, exec, s[16:17]
.LBB3_540:                              ;   in Loop: Header=BB3_5 Depth=1
	s_or_b64 exec, exec, s[14:15]
	global_load_dwordx2 v[10:11], v35, s[2:3] offset:40
	global_load_dwordx4 v[12:15], v35, s[2:3]
	v_readfirstlane_b32 s14, v4
	v_readfirstlane_b32 s15, v5
	s_mov_b64 s[16:17], exec
	s_waitcnt vmcnt(1)
	v_readfirstlane_b32 s18, v10
	v_readfirstlane_b32 s19, v11
	s_and_b64 s[18:19], s[14:15], s[18:19]
	s_mul_i32 s20, s19, 24
	s_mul_hi_u32 s21, s18, 24
	s_mul_i32 s22, s18, 24
	s_add_i32 s20, s21, s20
	v_mov_b32_e32 v1, s20
	s_waitcnt vmcnt(0)
	v_add_co_u32_e32 v16, vcc, s22, v12
	v_addc_co_u32_e32 v17, vcc, v13, v1, vcc
	s_and_saveexec_b64 s[20:21], s[0:1]
	s_cbranch_execz .LBB3_542
; %bb.541:                              ;   in Loop: Header=BB3_5 Depth=1
	v_pk_mov_b32 v[4:5], s[16:17], s[16:17] op_sel:[0,1]
	global_store_dwordx4 v[16:17], v[4:7], off offset:8
.LBB3_542:                              ;   in Loop: Header=BB3_5 Depth=1
	s_or_b64 exec, exec, s[20:21]
	s_lshl_b64 s[16:17], s[18:19], 12
	v_mov_b32_e32 v1, s17
	v_add_co_u32_e32 v4, vcc, s16, v14
	v_addc_co_u32_e32 v1, vcc, v15, v1, vcc
	v_and_or_b32 v8, v8, s29, 32
	v_mov_b32_e32 v10, v3
	v_mov_b32_e32 v11, v3
	v_readfirstlane_b32 s16, v4
	v_readfirstlane_b32 s17, v1
	s_nop 4
	global_store_dwordx4 v46, v[8:11], s[16:17]
	s_nop 0
	v_pk_mov_b32 v[8:9], s[8:9], s[8:9] op_sel:[0,1]
	v_pk_mov_b32 v[10:11], s[10:11], s[10:11] op_sel:[0,1]
	global_store_dwordx4 v46, v[8:11], s[16:17] offset:16
	global_store_dwordx4 v46, v[8:11], s[16:17] offset:32
	;; [unrolled: 1-line block ×3, first 2 shown]
	s_and_saveexec_b64 s[16:17], s[0:1]
	s_cbranch_execz .LBB3_550
; %bb.543:                              ;   in Loop: Header=BB3_5 Depth=1
	global_load_dwordx2 v[20:21], v35, s[2:3] offset:32 glc
	global_load_dwordx2 v[8:9], v35, s[2:3] offset:40
	v_mov_b32_e32 v18, s14
	v_mov_b32_e32 v19, s15
	s_waitcnt vmcnt(0)
	v_readfirstlane_b32 s18, v8
	v_readfirstlane_b32 s19, v9
	s_and_b64 s[18:19], s[18:19], s[14:15]
	s_mul_i32 s19, s19, 24
	s_mul_hi_u32 s20, s18, 24
	s_mul_i32 s18, s18, 24
	s_add_i32 s19, s20, s19
	v_mov_b32_e32 v2, s19
	v_add_co_u32_e32 v12, vcc, s18, v12
	v_addc_co_u32_e32 v13, vcc, v13, v2, vcc
	global_store_dwordx2 v[12:13], v[20:21], off
	buffer_wbl2
	s_waitcnt vmcnt(0)
	global_atomic_cmpswap_x2 v[10:11], v35, v[18:21], s[2:3] offset:32 glc
	s_waitcnt vmcnt(0)
	v_cmp_ne_u64_e32 vcc, v[10:11], v[20:21]
	s_and_saveexec_b64 s[18:19], vcc
	s_cbranch_execz .LBB3_546
; %bb.544:                              ;   in Loop: Header=BB3_5 Depth=1
	s_mov_b64 s[20:21], 0
.LBB3_545:                              ;   Parent Loop BB3_5 Depth=1
                                        ; =>  This Inner Loop Header: Depth=2
	s_sleep 1
	global_store_dwordx2 v[12:13], v[10:11], off
	v_mov_b32_e32 v8, s14
	v_mov_b32_e32 v9, s15
	buffer_wbl2
	s_waitcnt vmcnt(0)
	global_atomic_cmpswap_x2 v[8:9], v35, v[8:11], s[2:3] offset:32 glc
	s_waitcnt vmcnt(0)
	v_cmp_eq_u64_e32 vcc, v[8:9], v[10:11]
	s_or_b64 s[20:21], vcc, s[20:21]
	v_pk_mov_b32 v[10:11], v[8:9], v[8:9] op_sel:[0,1]
	s_andn2_b64 exec, exec, s[20:21]
	s_cbranch_execnz .LBB3_545
.LBB3_546:                              ;   in Loop: Header=BB3_5 Depth=1
	s_or_b64 exec, exec, s[18:19]
	global_load_dwordx2 v[8:9], v35, s[2:3] offset:16
	s_mov_b64 s[20:21], exec
	v_mbcnt_lo_u32_b32 v2, s20, 0
	v_mbcnt_hi_u32_b32 v2, s21, v2
	v_cmp_eq_u32_e32 vcc, 0, v2
	s_and_saveexec_b64 s[18:19], vcc
	s_cbranch_execz .LBB3_548
; %bb.547:                              ;   in Loop: Header=BB3_5 Depth=1
	s_bcnt1_i32_b64 s20, s[20:21]
	v_mov_b32_e32 v2, s20
	buffer_wbl2
	s_waitcnt vmcnt(0)
	global_atomic_add_x2 v[8:9], v[2:3], off offset:8
.LBB3_548:                              ;   in Loop: Header=BB3_5 Depth=1
	s_or_b64 exec, exec, s[18:19]
	s_waitcnt vmcnt(0)
	global_load_dwordx2 v[10:11], v[8:9], off offset:16
	s_waitcnt vmcnt(0)
	v_cmp_eq_u64_e32 vcc, 0, v[10:11]
	s_cbranch_vccnz .LBB3_550
; %bb.549:                              ;   in Loop: Header=BB3_5 Depth=1
	global_load_dword v34, v[8:9], off offset:24
	s_waitcnt vmcnt(0)
	v_and_b32_e32 v2, 0xffffff, v34
	v_readfirstlane_b32 m0, v2
	buffer_wbl2
	global_store_dwordx2 v[10:11], v[34:35], off
	s_sendmsg sendmsg(MSG_INTERRUPT)
.LBB3_550:                              ;   in Loop: Header=BB3_5 Depth=1
	s_or_b64 exec, exec, s[16:17]
	v_add_co_u32_e32 v4, vcc, v4, v46
	v_addc_co_u32_e32 v5, vcc, 0, v1, vcc
	s_branch .LBB3_554
.LBB3_551:                              ;   in Loop: Header=BB3_554 Depth=2
	s_or_b64 exec, exec, s[16:17]
	v_readfirstlane_b32 s16, v1
	s_cmp_eq_u32 s16, 0
	s_cbranch_scc1 .LBB3_553
; %bb.552:                              ;   in Loop: Header=BB3_554 Depth=2
	s_sleep 1
	s_cbranch_execnz .LBB3_554
	s_branch .LBB3_556
.LBB3_553:                              ;   in Loop: Header=BB3_5 Depth=1
	s_branch .LBB3_556
.LBB3_554:                              ;   Parent Loop BB3_5 Depth=1
                                        ; =>  This Inner Loop Header: Depth=2
	v_mov_b32_e32 v1, 1
	s_and_saveexec_b64 s[16:17], s[0:1]
	s_cbranch_execz .LBB3_551
; %bb.555:                              ;   in Loop: Header=BB3_554 Depth=2
	global_load_dword v1, v[16:17], off offset:20 glc
	s_waitcnt vmcnt(0)
	buffer_invl2
	buffer_wbinvl1_vol
	v_and_b32_e32 v1, 1, v1
	s_branch .LBB3_551
.LBB3_556:                              ;   in Loop: Header=BB3_5 Depth=1
	global_load_dwordx2 v[10:11], v[4:5], off
	s_and_saveexec_b64 s[16:17], s[0:1]
	s_cbranch_execz .LBB3_560
; %bb.557:                              ;   in Loop: Header=BB3_5 Depth=1
	global_load_dwordx2 v[4:5], v35, s[2:3] offset:40
	global_load_dwordx2 v[8:9], v35, s[2:3] offset:24 glc
	global_load_dwordx2 v[16:17], v35, s[2:3]
	v_mov_b32_e32 v1, s15
	s_waitcnt vmcnt(2)
	v_add_co_u32_e32 v2, vcc, 1, v4
	v_addc_co_u32_e32 v15, vcc, 0, v5, vcc
	v_add_co_u32_e32 v12, vcc, s14, v2
	v_addc_co_u32_e32 v13, vcc, v15, v1, vcc
	v_cmp_eq_u64_e32 vcc, 0, v[12:13]
	v_cndmask_b32_e32 v13, v13, v15, vcc
	v_cndmask_b32_e32 v12, v12, v2, vcc
	v_and_b32_e32 v1, v13, v5
	v_and_b32_e32 v2, v12, v4
	v_mul_lo_u32 v1, v1, 24
	v_mul_hi_u32 v4, v2, 24
	v_mul_lo_u32 v2, v2, 24
	v_add_u32_e32 v1, v4, v1
	s_waitcnt vmcnt(0)
	v_add_co_u32_e32 v4, vcc, v16, v2
	v_addc_co_u32_e32 v5, vcc, v17, v1, vcc
	v_mov_b32_e32 v14, v8
	global_store_dwordx2 v[4:5], v[8:9], off
	v_mov_b32_e32 v15, v9
	buffer_wbl2
	s_waitcnt vmcnt(0)
	global_atomic_cmpswap_x2 v[14:15], v35, v[12:15], s[2:3] offset:24 glc
	s_waitcnt vmcnt(0)
	v_cmp_ne_u64_e32 vcc, v[14:15], v[8:9]
	s_and_b64 exec, exec, vcc
	s_cbranch_execz .LBB3_560
; %bb.558:                              ;   in Loop: Header=BB3_5 Depth=1
	s_mov_b64 s[0:1], 0
.LBB3_559:                              ;   Parent Loop BB3_5 Depth=1
                                        ; =>  This Inner Loop Header: Depth=2
	s_sleep 1
	global_store_dwordx2 v[4:5], v[14:15], off
	buffer_wbl2
	s_waitcnt vmcnt(0)
	global_atomic_cmpswap_x2 v[8:9], v35, v[12:15], s[2:3] offset:24 glc
	s_waitcnt vmcnt(0)
	v_cmp_eq_u64_e32 vcc, v[8:9], v[14:15]
	s_or_b64 s[0:1], vcc, s[0:1]
	v_pk_mov_b32 v[14:15], v[8:9], v[8:9] op_sel:[0,1]
	s_andn2_b64 exec, exec, s[0:1]
	s_cbranch_execnz .LBB3_559
.LBB3_560:                              ;   in Loop: Header=BB3_5 Depth=1
	s_or_b64 exec, exec, s[16:17]
.LBB3_561:                              ;   in Loop: Header=BB3_5 Depth=1
	v_readfirstlane_b32 s0, v32
	v_cmp_eq_u32_e64 s[0:1], s0, v32
	v_pk_mov_b32 v[4:5], 0, 0
	s_and_saveexec_b64 s[14:15], s[0:1]
	s_cbranch_execz .LBB3_567
; %bb.562:                              ;   in Loop: Header=BB3_5 Depth=1
	global_load_dwordx2 v[14:15], v35, s[2:3] offset:24 glc
	s_waitcnt vmcnt(0)
	buffer_invl2
	buffer_wbinvl1_vol
	global_load_dwordx2 v[4:5], v35, s[2:3] offset:40
	global_load_dwordx2 v[8:9], v35, s[2:3]
	s_waitcnt vmcnt(1)
	v_and_b32_e32 v1, v4, v14
	v_and_b32_e32 v2, v5, v15
	v_mul_lo_u32 v2, v2, 24
	v_mul_hi_u32 v4, v1, 24
	v_mul_lo_u32 v1, v1, 24
	v_add_u32_e32 v2, v4, v2
	s_waitcnt vmcnt(0)
	v_add_co_u32_e32 v4, vcc, v8, v1
	v_addc_co_u32_e32 v5, vcc, v9, v2, vcc
	global_load_dwordx2 v[12:13], v[4:5], off glc
	s_waitcnt vmcnt(0)
	global_atomic_cmpswap_x2 v[4:5], v35, v[12:15], s[2:3] offset:24 glc
	s_waitcnt vmcnt(0)
	buffer_invl2
	buffer_wbinvl1_vol
	v_cmp_ne_u64_e32 vcc, v[4:5], v[14:15]
	s_and_saveexec_b64 s[16:17], vcc
	s_cbranch_execz .LBB3_566
; %bb.563:                              ;   in Loop: Header=BB3_5 Depth=1
	s_mov_b64 s[18:19], 0
.LBB3_564:                              ;   Parent Loop BB3_5 Depth=1
                                        ; =>  This Inner Loop Header: Depth=2
	s_sleep 1
	global_load_dwordx2 v[8:9], v35, s[2:3] offset:40
	global_load_dwordx2 v[12:13], v35, s[2:3]
	v_pk_mov_b32 v[14:15], v[4:5], v[4:5] op_sel:[0,1]
	s_waitcnt vmcnt(1)
	v_and_b32_e32 v2, v8, v14
	s_waitcnt vmcnt(0)
	v_mad_u64_u32 v[4:5], s[20:21], v2, 24, v[12:13]
	v_and_b32_e32 v1, v9, v15
	v_mov_b32_e32 v2, v5
	v_mad_u64_u32 v[8:9], s[20:21], v1, 24, v[2:3]
	v_mov_b32_e32 v5, v8
	global_load_dwordx2 v[12:13], v[4:5], off glc
	s_waitcnt vmcnt(0)
	global_atomic_cmpswap_x2 v[4:5], v35, v[12:15], s[2:3] offset:24 glc
	s_waitcnt vmcnt(0)
	buffer_invl2
	buffer_wbinvl1_vol
	v_cmp_eq_u64_e32 vcc, v[4:5], v[14:15]
	s_or_b64 s[18:19], vcc, s[18:19]
	s_andn2_b64 exec, exec, s[18:19]
	s_cbranch_execnz .LBB3_564
; %bb.565:                              ;   in Loop: Header=BB3_5 Depth=1
	s_or_b64 exec, exec, s[18:19]
.LBB3_566:                              ;   in Loop: Header=BB3_5 Depth=1
	s_or_b64 exec, exec, s[16:17]
.LBB3_567:                              ;   in Loop: Header=BB3_5 Depth=1
	s_or_b64 exec, exec, s[14:15]
	global_load_dwordx2 v[8:9], v35, s[2:3] offset:40
	global_load_dwordx4 v[14:17], v35, s[2:3]
	v_readfirstlane_b32 s14, v4
	v_readfirstlane_b32 s15, v5
	s_mov_b64 s[16:17], exec
	s_waitcnt vmcnt(1)
	v_readfirstlane_b32 s18, v8
	v_readfirstlane_b32 s19, v9
	s_and_b64 s[18:19], s[14:15], s[18:19]
	s_mul_i32 s20, s19, 24
	s_mul_hi_u32 s21, s18, 24
	s_mul_i32 s22, s18, 24
	s_add_i32 s20, s21, s20
	v_mov_b32_e32 v1, s20
	s_waitcnt vmcnt(0)
	v_add_co_u32_e32 v18, vcc, s22, v14
	v_addc_co_u32_e32 v19, vcc, v15, v1, vcc
	s_and_saveexec_b64 s[20:21], s[0:1]
	s_cbranch_execz .LBB3_569
; %bb.568:                              ;   in Loop: Header=BB3_5 Depth=1
	v_pk_mov_b32 v[4:5], s[16:17], s[16:17] op_sel:[0,1]
	global_store_dwordx4 v[18:19], v[4:7], off offset:8
.LBB3_569:                              ;   in Loop: Header=BB3_5 Depth=1
	s_or_b64 exec, exec, s[20:21]
	s_lshl_b64 s[16:17], s[18:19], 12
	v_mov_b32_e32 v1, s17
	v_add_co_u32_e32 v4, vcc, s16, v16
	v_addc_co_u32_e32 v1, vcc, v17, v1, vcc
	v_and_or_b32 v10, v10, s29, 32
	v_mov_b32_e32 v12, v30
	v_mov_b32_e32 v13, v31
	v_readfirstlane_b32 s16, v4
	v_readfirstlane_b32 s17, v1
	s_nop 4
	global_store_dwordx4 v46, v[10:13], s[16:17]
	v_pk_mov_b32 v[8:9], s[8:9], s[8:9] op_sel:[0,1]
	v_pk_mov_b32 v[10:11], s[10:11], s[10:11] op_sel:[0,1]
	global_store_dwordx4 v46, v[8:11], s[16:17] offset:16
	global_store_dwordx4 v46, v[8:11], s[16:17] offset:32
	;; [unrolled: 1-line block ×3, first 2 shown]
	s_and_saveexec_b64 s[16:17], s[0:1]
	s_cbranch_execz .LBB3_577
; %bb.570:                              ;   in Loop: Header=BB3_5 Depth=1
	global_load_dwordx2 v[22:23], v35, s[2:3] offset:32 glc
	global_load_dwordx2 v[8:9], v35, s[2:3] offset:40
	v_mov_b32_e32 v20, s14
	v_mov_b32_e32 v21, s15
	s_waitcnt vmcnt(0)
	v_readfirstlane_b32 s18, v8
	v_readfirstlane_b32 s19, v9
	s_and_b64 s[18:19], s[18:19], s[14:15]
	s_mul_i32 s19, s19, 24
	s_mul_hi_u32 s20, s18, 24
	s_mul_i32 s18, s18, 24
	s_add_i32 s19, s20, s19
	v_mov_b32_e32 v2, s19
	v_add_co_u32_e32 v12, vcc, s18, v14
	v_addc_co_u32_e32 v13, vcc, v15, v2, vcc
	global_store_dwordx2 v[12:13], v[22:23], off
	buffer_wbl2
	s_waitcnt vmcnt(0)
	global_atomic_cmpswap_x2 v[10:11], v35, v[20:23], s[2:3] offset:32 glc
	s_waitcnt vmcnt(0)
	v_cmp_ne_u64_e32 vcc, v[10:11], v[22:23]
	s_and_saveexec_b64 s[18:19], vcc
	s_cbranch_execz .LBB3_573
; %bb.571:                              ;   in Loop: Header=BB3_5 Depth=1
	s_mov_b64 s[20:21], 0
.LBB3_572:                              ;   Parent Loop BB3_5 Depth=1
                                        ; =>  This Inner Loop Header: Depth=2
	s_sleep 1
	global_store_dwordx2 v[12:13], v[10:11], off
	v_mov_b32_e32 v8, s14
	v_mov_b32_e32 v9, s15
	buffer_wbl2
	s_waitcnt vmcnt(0)
	global_atomic_cmpswap_x2 v[8:9], v35, v[8:11], s[2:3] offset:32 glc
	s_waitcnt vmcnt(0)
	v_cmp_eq_u64_e32 vcc, v[8:9], v[10:11]
	s_or_b64 s[20:21], vcc, s[20:21]
	v_pk_mov_b32 v[10:11], v[8:9], v[8:9] op_sel:[0,1]
	s_andn2_b64 exec, exec, s[20:21]
	s_cbranch_execnz .LBB3_572
.LBB3_573:                              ;   in Loop: Header=BB3_5 Depth=1
	s_or_b64 exec, exec, s[18:19]
	global_load_dwordx2 v[8:9], v35, s[2:3] offset:16
	s_mov_b64 s[20:21], exec
	v_mbcnt_lo_u32_b32 v2, s20, 0
	v_mbcnt_hi_u32_b32 v2, s21, v2
	v_cmp_eq_u32_e32 vcc, 0, v2
	s_and_saveexec_b64 s[18:19], vcc
	s_cbranch_execz .LBB3_575
; %bb.574:                              ;   in Loop: Header=BB3_5 Depth=1
	s_bcnt1_i32_b64 s20, s[20:21]
	v_mov_b32_e32 v2, s20
	buffer_wbl2
	s_waitcnt vmcnt(0)
	global_atomic_add_x2 v[8:9], v[2:3], off offset:8
.LBB3_575:                              ;   in Loop: Header=BB3_5 Depth=1
	s_or_b64 exec, exec, s[18:19]
	s_waitcnt vmcnt(0)
	global_load_dwordx2 v[10:11], v[8:9], off offset:16
	s_waitcnt vmcnt(0)
	v_cmp_eq_u64_e32 vcc, 0, v[10:11]
	s_cbranch_vccnz .LBB3_577
; %bb.576:                              ;   in Loop: Header=BB3_5 Depth=1
	global_load_dword v34, v[8:9], off offset:24
	s_waitcnt vmcnt(0)
	v_and_b32_e32 v2, 0xffffff, v34
	v_readfirstlane_b32 m0, v2
	buffer_wbl2
	global_store_dwordx2 v[10:11], v[34:35], off
	s_sendmsg sendmsg(MSG_INTERRUPT)
.LBB3_577:                              ;   in Loop: Header=BB3_5 Depth=1
	s_or_b64 exec, exec, s[16:17]
	v_add_co_u32_e32 v4, vcc, v4, v46
	v_addc_co_u32_e32 v5, vcc, 0, v1, vcc
	s_branch .LBB3_581
.LBB3_578:                              ;   in Loop: Header=BB3_581 Depth=2
	s_or_b64 exec, exec, s[16:17]
	v_readfirstlane_b32 s16, v1
	s_cmp_eq_u32 s16, 0
	s_cbranch_scc1 .LBB3_580
; %bb.579:                              ;   in Loop: Header=BB3_581 Depth=2
	s_sleep 1
	s_cbranch_execnz .LBB3_581
	s_branch .LBB3_583
.LBB3_580:                              ;   in Loop: Header=BB3_5 Depth=1
	s_branch .LBB3_583
.LBB3_581:                              ;   Parent Loop BB3_5 Depth=1
                                        ; =>  This Inner Loop Header: Depth=2
	v_mov_b32_e32 v1, 1
	s_and_saveexec_b64 s[16:17], s[0:1]
	s_cbranch_execz .LBB3_578
; %bb.582:                              ;   in Loop: Header=BB3_581 Depth=2
	global_load_dword v1, v[18:19], off offset:20 glc
	s_waitcnt vmcnt(0)
	buffer_invl2
	buffer_wbinvl1_vol
	v_and_b32_e32 v1, 1, v1
	s_branch .LBB3_578
.LBB3_583:                              ;   in Loop: Header=BB3_5 Depth=1
	global_load_dwordx2 v[8:9], v[4:5], off
	s_and_saveexec_b64 s[16:17], s[0:1]
	s_cbranch_execz .LBB3_587
; %bb.584:                              ;   in Loop: Header=BB3_5 Depth=1
	global_load_dwordx2 v[4:5], v35, s[2:3] offset:40
	global_load_dwordx2 v[14:15], v35, s[2:3] offset:24 glc
	global_load_dwordx2 v[16:17], v35, s[2:3]
	v_mov_b32_e32 v1, s15
	s_waitcnt vmcnt(2)
	v_add_co_u32_e32 v2, vcc, 1, v4
	v_addc_co_u32_e32 v13, vcc, 0, v5, vcc
	v_add_co_u32_e32 v10, vcc, s14, v2
	v_addc_co_u32_e32 v11, vcc, v13, v1, vcc
	v_cmp_eq_u64_e32 vcc, 0, v[10:11]
	v_cndmask_b32_e32 v11, v11, v13, vcc
	v_cndmask_b32_e32 v10, v10, v2, vcc
	v_and_b32_e32 v1, v11, v5
	v_and_b32_e32 v2, v10, v4
	v_mul_lo_u32 v1, v1, 24
	v_mul_hi_u32 v4, v2, 24
	v_mul_lo_u32 v2, v2, 24
	v_add_u32_e32 v1, v4, v1
	s_waitcnt vmcnt(0)
	v_add_co_u32_e32 v4, vcc, v16, v2
	v_addc_co_u32_e32 v5, vcc, v17, v1, vcc
	v_mov_b32_e32 v12, v14
	global_store_dwordx2 v[4:5], v[14:15], off
	v_mov_b32_e32 v13, v15
	buffer_wbl2
	s_waitcnt vmcnt(0)
	global_atomic_cmpswap_x2 v[12:13], v35, v[10:13], s[2:3] offset:24 glc
	s_waitcnt vmcnt(0)
	v_cmp_ne_u64_e32 vcc, v[12:13], v[14:15]
	s_and_b64 exec, exec, vcc
	s_cbranch_execz .LBB3_587
; %bb.585:                              ;   in Loop: Header=BB3_5 Depth=1
	s_mov_b64 s[0:1], 0
.LBB3_586:                              ;   Parent Loop BB3_5 Depth=1
                                        ; =>  This Inner Loop Header: Depth=2
	s_sleep 1
	global_store_dwordx2 v[4:5], v[12:13], off
	buffer_wbl2
	s_waitcnt vmcnt(0)
	global_atomic_cmpswap_x2 v[14:15], v35, v[10:13], s[2:3] offset:24 glc
	s_waitcnt vmcnt(0)
	v_cmp_eq_u64_e32 vcc, v[14:15], v[12:13]
	s_or_b64 s[0:1], vcc, s[0:1]
	v_pk_mov_b32 v[12:13], v[14:15], v[14:15] op_sel:[0,1]
	s_andn2_b64 exec, exec, s[0:1]
	s_cbranch_execnz .LBB3_586
.LBB3_587:                              ;   in Loop: Header=BB3_5 Depth=1
	s_or_b64 exec, exec, s[16:17]
	v_readfirstlane_b32 s0, v32
	v_cmp_eq_u32_e64 s[0:1], s0, v32
	v_pk_mov_b32 v[4:5], 0, 0
	s_and_saveexec_b64 s[14:15], s[0:1]
	s_cbranch_execz .LBB3_593
; %bb.588:                              ;   in Loop: Header=BB3_5 Depth=1
	global_load_dwordx2 v[12:13], v35, s[2:3] offset:24 glc
	s_waitcnt vmcnt(0)
	buffer_invl2
	buffer_wbinvl1_vol
	global_load_dwordx2 v[4:5], v35, s[2:3] offset:40
	global_load_dwordx2 v[10:11], v35, s[2:3]
	s_waitcnt vmcnt(1)
	v_and_b32_e32 v1, v4, v12
	v_and_b32_e32 v2, v5, v13
	v_mul_lo_u32 v2, v2, 24
	v_mul_hi_u32 v4, v1, 24
	v_mul_lo_u32 v1, v1, 24
	v_add_u32_e32 v2, v4, v2
	s_waitcnt vmcnt(0)
	v_add_co_u32_e32 v4, vcc, v10, v1
	v_addc_co_u32_e32 v5, vcc, v11, v2, vcc
	global_load_dwordx2 v[10:11], v[4:5], off glc
	s_waitcnt vmcnt(0)
	global_atomic_cmpswap_x2 v[4:5], v35, v[10:13], s[2:3] offset:24 glc
	s_waitcnt vmcnt(0)
	buffer_invl2
	buffer_wbinvl1_vol
	v_cmp_ne_u64_e32 vcc, v[4:5], v[12:13]
	s_and_saveexec_b64 s[16:17], vcc
	s_cbranch_execz .LBB3_592
; %bb.589:                              ;   in Loop: Header=BB3_5 Depth=1
	s_mov_b64 s[18:19], 0
.LBB3_590:                              ;   Parent Loop BB3_5 Depth=1
                                        ; =>  This Inner Loop Header: Depth=2
	s_sleep 1
	global_load_dwordx2 v[10:11], v35, s[2:3] offset:40
	global_load_dwordx2 v[14:15], v35, s[2:3]
	v_pk_mov_b32 v[12:13], v[4:5], v[4:5] op_sel:[0,1]
	s_waitcnt vmcnt(1)
	v_and_b32_e32 v2, v10, v12
	s_waitcnt vmcnt(0)
	v_mad_u64_u32 v[4:5], s[20:21], v2, 24, v[14:15]
	v_and_b32_e32 v1, v11, v13
	v_mov_b32_e32 v2, v5
	v_mad_u64_u32 v[10:11], s[20:21], v1, 24, v[2:3]
	v_mov_b32_e32 v5, v10
	global_load_dwordx2 v[10:11], v[4:5], off glc
	s_waitcnt vmcnt(0)
	global_atomic_cmpswap_x2 v[4:5], v35, v[10:13], s[2:3] offset:24 glc
	s_waitcnt vmcnt(0)
	buffer_invl2
	buffer_wbinvl1_vol
	v_cmp_eq_u64_e32 vcc, v[4:5], v[12:13]
	s_or_b64 s[18:19], vcc, s[18:19]
	s_andn2_b64 exec, exec, s[18:19]
	s_cbranch_execnz .LBB3_590
; %bb.591:                              ;   in Loop: Header=BB3_5 Depth=1
	s_or_b64 exec, exec, s[18:19]
.LBB3_592:                              ;   in Loop: Header=BB3_5 Depth=1
	s_or_b64 exec, exec, s[16:17]
.LBB3_593:                              ;   in Loop: Header=BB3_5 Depth=1
	s_or_b64 exec, exec, s[14:15]
	global_load_dwordx2 v[10:11], v35, s[2:3] offset:40
	global_load_dwordx4 v[12:15], v35, s[2:3]
	v_readfirstlane_b32 s14, v4
	v_readfirstlane_b32 s15, v5
	s_mov_b64 s[16:17], exec
	s_waitcnt vmcnt(1)
	v_readfirstlane_b32 s18, v10
	v_readfirstlane_b32 s19, v11
	s_and_b64 s[18:19], s[14:15], s[18:19]
	s_mul_i32 s20, s19, 24
	s_mul_hi_u32 s21, s18, 24
	s_mul_i32 s22, s18, 24
	s_add_i32 s20, s21, s20
	v_mov_b32_e32 v1, s20
	s_waitcnt vmcnt(0)
	v_add_co_u32_e32 v16, vcc, s22, v12
	v_addc_co_u32_e32 v17, vcc, v13, v1, vcc
	s_and_saveexec_b64 s[20:21], s[0:1]
	s_cbranch_execz .LBB3_595
; %bb.594:                              ;   in Loop: Header=BB3_5 Depth=1
	v_pk_mov_b32 v[4:5], s[16:17], s[16:17] op_sel:[0,1]
	global_store_dwordx4 v[16:17], v[4:7], off offset:8
.LBB3_595:                              ;   in Loop: Header=BB3_5 Depth=1
	s_or_b64 exec, exec, s[20:21]
	s_lshl_b64 s[16:17], s[18:19], 12
	v_mov_b32_e32 v1, s17
	v_add_co_u32_e32 v4, vcc, s16, v14
	v_addc_co_u32_e32 v1, vcc, v15, v1, vcc
	s_mul_i32 s16, s31, 10
	v_and_or_b32 v8, v8, s30, 34
	v_mov_b32_e32 v10, s16
	v_mov_b32_e32 v11, v3
	v_readfirstlane_b32 s16, v4
	v_readfirstlane_b32 s17, v1
	s_nop 4
	global_store_dwordx4 v46, v[8:11], s[16:17]
	s_nop 0
	v_pk_mov_b32 v[8:9], s[8:9], s[8:9] op_sel:[0,1]
	v_pk_mov_b32 v[10:11], s[10:11], s[10:11] op_sel:[0,1]
	global_store_dwordx4 v46, v[8:11], s[16:17] offset:16
	global_store_dwordx4 v46, v[8:11], s[16:17] offset:32
	;; [unrolled: 1-line block ×3, first 2 shown]
	s_and_saveexec_b64 s[16:17], s[0:1]
	s_cbranch_execz .LBB3_603
; %bb.596:                              ;   in Loop: Header=BB3_5 Depth=1
	global_load_dwordx2 v[20:21], v35, s[2:3] offset:32 glc
	global_load_dwordx2 v[8:9], v35, s[2:3] offset:40
	v_mov_b32_e32 v18, s14
	v_mov_b32_e32 v19, s15
	s_waitcnt vmcnt(0)
	v_readfirstlane_b32 s18, v8
	v_readfirstlane_b32 s19, v9
	s_and_b64 s[18:19], s[18:19], s[14:15]
	s_mul_i32 s19, s19, 24
	s_mul_hi_u32 s20, s18, 24
	s_mul_i32 s18, s18, 24
	s_add_i32 s19, s20, s19
	v_mov_b32_e32 v2, s19
	v_add_co_u32_e32 v12, vcc, s18, v12
	v_addc_co_u32_e32 v13, vcc, v13, v2, vcc
	global_store_dwordx2 v[12:13], v[20:21], off
	buffer_wbl2
	s_waitcnt vmcnt(0)
	global_atomic_cmpswap_x2 v[10:11], v35, v[18:21], s[2:3] offset:32 glc
	s_waitcnt vmcnt(0)
	v_cmp_ne_u64_e32 vcc, v[10:11], v[20:21]
	s_and_saveexec_b64 s[18:19], vcc
	s_cbranch_execz .LBB3_599
; %bb.597:                              ;   in Loop: Header=BB3_5 Depth=1
	s_mov_b64 s[20:21], 0
.LBB3_598:                              ;   Parent Loop BB3_5 Depth=1
                                        ; =>  This Inner Loop Header: Depth=2
	s_sleep 1
	global_store_dwordx2 v[12:13], v[10:11], off
	v_mov_b32_e32 v8, s14
	v_mov_b32_e32 v9, s15
	buffer_wbl2
	s_waitcnt vmcnt(0)
	global_atomic_cmpswap_x2 v[8:9], v35, v[8:11], s[2:3] offset:32 glc
	s_waitcnt vmcnt(0)
	v_cmp_eq_u64_e32 vcc, v[8:9], v[10:11]
	s_or_b64 s[20:21], vcc, s[20:21]
	v_pk_mov_b32 v[10:11], v[8:9], v[8:9] op_sel:[0,1]
	s_andn2_b64 exec, exec, s[20:21]
	s_cbranch_execnz .LBB3_598
.LBB3_599:                              ;   in Loop: Header=BB3_5 Depth=1
	s_or_b64 exec, exec, s[18:19]
	global_load_dwordx2 v[8:9], v35, s[2:3] offset:16
	s_mov_b64 s[20:21], exec
	v_mbcnt_lo_u32_b32 v2, s20, 0
	v_mbcnt_hi_u32_b32 v2, s21, v2
	v_cmp_eq_u32_e32 vcc, 0, v2
	s_and_saveexec_b64 s[18:19], vcc
	s_cbranch_execz .LBB3_601
; %bb.600:                              ;   in Loop: Header=BB3_5 Depth=1
	s_bcnt1_i32_b64 s20, s[20:21]
	v_mov_b32_e32 v2, s20
	buffer_wbl2
	s_waitcnt vmcnt(0)
	global_atomic_add_x2 v[8:9], v[2:3], off offset:8
.LBB3_601:                              ;   in Loop: Header=BB3_5 Depth=1
	s_or_b64 exec, exec, s[18:19]
	s_waitcnt vmcnt(0)
	global_load_dwordx2 v[10:11], v[8:9], off offset:16
	s_waitcnt vmcnt(0)
	v_cmp_eq_u64_e32 vcc, 0, v[10:11]
	s_cbranch_vccnz .LBB3_603
; %bb.602:                              ;   in Loop: Header=BB3_5 Depth=1
	global_load_dword v34, v[8:9], off offset:24
	s_waitcnt vmcnt(0)
	v_and_b32_e32 v2, 0xffffff, v34
	v_readfirstlane_b32 m0, v2
	buffer_wbl2
	global_store_dwordx2 v[10:11], v[34:35], off
	s_sendmsg sendmsg(MSG_INTERRUPT)
.LBB3_603:                              ;   in Loop: Header=BB3_5 Depth=1
	s_or_b64 exec, exec, s[16:17]
	v_add_co_u32_e32 v4, vcc, v4, v46
	v_addc_co_u32_e32 v5, vcc, 0, v1, vcc
	s_branch .LBB3_607
.LBB3_604:                              ;   in Loop: Header=BB3_607 Depth=2
	s_or_b64 exec, exec, s[16:17]
	v_readfirstlane_b32 s16, v1
	s_cmp_eq_u32 s16, 0
	s_cbranch_scc1 .LBB3_606
; %bb.605:                              ;   in Loop: Header=BB3_607 Depth=2
	s_sleep 1
	s_cbranch_execnz .LBB3_607
	s_branch .LBB3_609
.LBB3_606:                              ;   in Loop: Header=BB3_5 Depth=1
	s_branch .LBB3_609
.LBB3_607:                              ;   Parent Loop BB3_5 Depth=1
                                        ; =>  This Inner Loop Header: Depth=2
	v_mov_b32_e32 v1, 1
	s_and_saveexec_b64 s[16:17], s[0:1]
	s_cbranch_execz .LBB3_604
; %bb.608:                              ;   in Loop: Header=BB3_607 Depth=2
	global_load_dword v1, v[16:17], off offset:20 glc
	s_waitcnt vmcnt(0)
	buffer_invl2
	buffer_wbinvl1_vol
	v_and_b32_e32 v1, 1, v1
	s_branch .LBB3_604
.LBB3_609:                              ;   in Loop: Header=BB3_5 Depth=1
	global_load_dwordx2 v[38:39], v[4:5], off
	s_and_saveexec_b64 s[16:17], s[0:1]
	s_cbranch_execz .LBB3_613
; %bb.610:                              ;   in Loop: Header=BB3_5 Depth=1
	global_load_dwordx2 v[4:5], v35, s[2:3] offset:40
	global_load_dwordx2 v[12:13], v35, s[2:3] offset:24 glc
	global_load_dwordx2 v[14:15], v35, s[2:3]
	v_mov_b32_e32 v1, s15
	s_waitcnt vmcnt(2)
	v_add_co_u32_e32 v2, vcc, 1, v4
	v_addc_co_u32_e32 v11, vcc, 0, v5, vcc
	v_add_co_u32_e32 v8, vcc, s14, v2
	v_addc_co_u32_e32 v9, vcc, v11, v1, vcc
	v_cmp_eq_u64_e32 vcc, 0, v[8:9]
	v_cndmask_b32_e32 v9, v9, v11, vcc
	v_cndmask_b32_e32 v8, v8, v2, vcc
	v_and_b32_e32 v1, v9, v5
	v_and_b32_e32 v2, v8, v4
	v_mul_lo_u32 v1, v1, 24
	v_mul_hi_u32 v4, v2, 24
	v_mul_lo_u32 v2, v2, 24
	v_add_u32_e32 v1, v4, v1
	s_waitcnt vmcnt(0)
	v_add_co_u32_e32 v4, vcc, v14, v2
	v_addc_co_u32_e32 v5, vcc, v15, v1, vcc
	v_mov_b32_e32 v10, v12
	global_store_dwordx2 v[4:5], v[12:13], off
	v_mov_b32_e32 v11, v13
	buffer_wbl2
	s_waitcnt vmcnt(0)
	global_atomic_cmpswap_x2 v[10:11], v35, v[8:11], s[2:3] offset:24 glc
	s_waitcnt vmcnt(0)
	v_cmp_ne_u64_e32 vcc, v[10:11], v[12:13]
	s_and_b64 exec, exec, vcc
	s_cbranch_execz .LBB3_613
; %bb.611:                              ;   in Loop: Header=BB3_5 Depth=1
	s_mov_b64 s[0:1], 0
.LBB3_612:                              ;   Parent Loop BB3_5 Depth=1
                                        ; =>  This Inner Loop Header: Depth=2
	s_sleep 1
	global_store_dwordx2 v[4:5], v[10:11], off
	buffer_wbl2
	s_waitcnt vmcnt(0)
	global_atomic_cmpswap_x2 v[12:13], v35, v[8:11], s[2:3] offset:24 glc
	s_waitcnt vmcnt(0)
	v_cmp_eq_u64_e32 vcc, v[12:13], v[10:11]
	s_or_b64 s[0:1], vcc, s[0:1]
	v_pk_mov_b32 v[10:11], v[12:13], v[12:13] op_sel:[0,1]
	s_andn2_b64 exec, exec, s[0:1]
	s_cbranch_execnz .LBB3_612
.LBB3_613:                              ;   in Loop: Header=BB3_5 Depth=1
	s_or_b64 exec, exec, s[16:17]
	v_readfirstlane_b32 s0, v32
	v_cmp_eq_u32_e64 s[0:1], s0, v32
	v_pk_mov_b32 v[4:5], 0, 0
	s_and_saveexec_b64 s[14:15], s[0:1]
	s_cbranch_execz .LBB3_619
; %bb.614:                              ;   in Loop: Header=BB3_5 Depth=1
	global_load_dwordx2 v[10:11], v35, s[2:3] offset:24 glc
	s_waitcnt vmcnt(0)
	buffer_invl2
	buffer_wbinvl1_vol
	global_load_dwordx2 v[4:5], v35, s[2:3] offset:40
	global_load_dwordx2 v[8:9], v35, s[2:3]
	s_waitcnt vmcnt(1)
	v_and_b32_e32 v1, v4, v10
	v_and_b32_e32 v2, v5, v11
	v_mul_lo_u32 v2, v2, 24
	v_mul_hi_u32 v4, v1, 24
	v_mul_lo_u32 v1, v1, 24
	v_add_u32_e32 v2, v4, v2
	s_waitcnt vmcnt(0)
	v_add_co_u32_e32 v4, vcc, v8, v1
	v_addc_co_u32_e32 v5, vcc, v9, v2, vcc
	global_load_dwordx2 v[8:9], v[4:5], off glc
	s_waitcnt vmcnt(0)
	global_atomic_cmpswap_x2 v[4:5], v35, v[8:11], s[2:3] offset:24 glc
	s_waitcnt vmcnt(0)
	buffer_invl2
	buffer_wbinvl1_vol
	v_cmp_ne_u64_e32 vcc, v[4:5], v[10:11]
	s_and_saveexec_b64 s[16:17], vcc
	s_cbranch_execz .LBB3_618
; %bb.615:                              ;   in Loop: Header=BB3_5 Depth=1
	s_mov_b64 s[18:19], 0
.LBB3_616:                              ;   Parent Loop BB3_5 Depth=1
                                        ; =>  This Inner Loop Header: Depth=2
	s_sleep 1
	global_load_dwordx2 v[8:9], v35, s[2:3] offset:40
	global_load_dwordx2 v[12:13], v35, s[2:3]
	v_pk_mov_b32 v[10:11], v[4:5], v[4:5] op_sel:[0,1]
	s_waitcnt vmcnt(1)
	v_and_b32_e32 v2, v8, v10
	s_waitcnt vmcnt(0)
	v_mad_u64_u32 v[4:5], s[20:21], v2, 24, v[12:13]
	v_and_b32_e32 v1, v9, v11
	v_mov_b32_e32 v2, v5
	v_mad_u64_u32 v[8:9], s[20:21], v1, 24, v[2:3]
	v_mov_b32_e32 v5, v8
	global_load_dwordx2 v[8:9], v[4:5], off glc
	s_waitcnt vmcnt(0)
	global_atomic_cmpswap_x2 v[4:5], v35, v[8:11], s[2:3] offset:24 glc
	s_waitcnt vmcnt(0)
	buffer_invl2
	buffer_wbinvl1_vol
	v_cmp_eq_u64_e32 vcc, v[4:5], v[10:11]
	s_or_b64 s[18:19], vcc, s[18:19]
	s_andn2_b64 exec, exec, s[18:19]
	s_cbranch_execnz .LBB3_616
; %bb.617:                              ;   in Loop: Header=BB3_5 Depth=1
	s_or_b64 exec, exec, s[18:19]
.LBB3_618:                              ;   in Loop: Header=BB3_5 Depth=1
	s_or_b64 exec, exec, s[16:17]
.LBB3_619:                              ;   in Loop: Header=BB3_5 Depth=1
	s_or_b64 exec, exec, s[14:15]
	global_load_dwordx2 v[12:13], v35, s[2:3] offset:40
	global_load_dwordx4 v[8:11], v35, s[2:3]
	v_readfirstlane_b32 s14, v4
	v_readfirstlane_b32 s15, v5
	s_mov_b64 s[16:17], exec
	s_waitcnt vmcnt(1)
	v_readfirstlane_b32 s18, v12
	v_readfirstlane_b32 s19, v13
	s_and_b64 s[18:19], s[14:15], s[18:19]
	s_mul_i32 s20, s19, 24
	s_mul_hi_u32 s21, s18, 24
	s_mul_i32 s22, s18, 24
	s_add_i32 s20, s21, s20
	v_mov_b32_e32 v1, s20
	s_waitcnt vmcnt(0)
	v_add_co_u32_e32 v12, vcc, s22, v8
	v_addc_co_u32_e32 v13, vcc, v9, v1, vcc
	s_and_saveexec_b64 s[20:21], s[0:1]
	s_cbranch_execz .LBB3_621
; %bb.620:                              ;   in Loop: Header=BB3_5 Depth=1
	v_pk_mov_b32 v[4:5], s[16:17], s[16:17] op_sel:[0,1]
	global_store_dwordx4 v[12:13], v[4:7], off offset:8
.LBB3_621:                              ;   in Loop: Header=BB3_5 Depth=1
	s_or_b64 exec, exec, s[20:21]
	s_lshl_b64 s[16:17], s[18:19], 12
	v_mov_b32_e32 v1, s17
	v_add_co_u32_e32 v4, vcc, s16, v10
	v_addc_co_u32_e32 v5, vcc, v11, v1, vcc
	v_pk_mov_b32 v[16:17], s[10:11], s[10:11] op_sel:[0,1]
	v_mov_b32_e32 v1, v3
	v_mov_b32_e32 v2, v3
	v_readfirstlane_b32 s16, v4
	v_readfirstlane_b32 s17, v5
	v_pk_mov_b32 v[14:15], s[8:9], s[8:9] op_sel:[0,1]
	s_nop 3
	global_store_dwordx4 v46, v[0:3], s[16:17]
	global_store_dwordx4 v46, v[14:17], s[16:17] offset:16
	global_store_dwordx4 v46, v[14:17], s[16:17] offset:32
	;; [unrolled: 1-line block ×3, first 2 shown]
	s_and_saveexec_b64 s[16:17], s[0:1]
	s_cbranch_execz .LBB3_629
; %bb.622:                              ;   in Loop: Header=BB3_5 Depth=1
	global_load_dwordx2 v[18:19], v35, s[2:3] offset:32 glc
	global_load_dwordx2 v[10:11], v35, s[2:3] offset:40
	v_mov_b32_e32 v16, s14
	v_mov_b32_e32 v17, s15
	s_waitcnt vmcnt(0)
	v_readfirstlane_b32 s18, v10
	v_readfirstlane_b32 s19, v11
	s_and_b64 s[18:19], s[18:19], s[14:15]
	s_mul_i32 s19, s19, 24
	s_mul_hi_u32 s20, s18, 24
	s_mul_i32 s18, s18, 24
	s_add_i32 s19, s20, s19
	v_mov_b32_e32 v1, s19
	v_add_co_u32_e32 v14, vcc, s18, v8
	v_addc_co_u32_e32 v15, vcc, v9, v1, vcc
	global_store_dwordx2 v[14:15], v[18:19], off
	buffer_wbl2
	s_waitcnt vmcnt(0)
	global_atomic_cmpswap_x2 v[10:11], v35, v[16:19], s[2:3] offset:32 glc
	s_waitcnt vmcnt(0)
	v_cmp_ne_u64_e32 vcc, v[10:11], v[18:19]
	s_and_saveexec_b64 s[18:19], vcc
	s_cbranch_execz .LBB3_625
; %bb.623:                              ;   in Loop: Header=BB3_5 Depth=1
	s_mov_b64 s[20:21], 0
.LBB3_624:                              ;   Parent Loop BB3_5 Depth=1
                                        ; =>  This Inner Loop Header: Depth=2
	s_sleep 1
	global_store_dwordx2 v[14:15], v[10:11], off
	v_mov_b32_e32 v8, s14
	v_mov_b32_e32 v9, s15
	buffer_wbl2
	s_waitcnt vmcnt(0)
	global_atomic_cmpswap_x2 v[8:9], v35, v[8:11], s[2:3] offset:32 glc
	s_waitcnt vmcnt(0)
	v_cmp_eq_u64_e32 vcc, v[8:9], v[10:11]
	s_or_b64 s[20:21], vcc, s[20:21]
	v_pk_mov_b32 v[10:11], v[8:9], v[8:9] op_sel:[0,1]
	s_andn2_b64 exec, exec, s[20:21]
	s_cbranch_execnz .LBB3_624
.LBB3_625:                              ;   in Loop: Header=BB3_5 Depth=1
	s_or_b64 exec, exec, s[18:19]
	global_load_dwordx2 v[8:9], v35, s[2:3] offset:16
	s_mov_b64 s[20:21], exec
	v_mbcnt_lo_u32_b32 v1, s20, 0
	v_mbcnt_hi_u32_b32 v1, s21, v1
	v_cmp_eq_u32_e32 vcc, 0, v1
	s_and_saveexec_b64 s[18:19], vcc
	s_cbranch_execz .LBB3_627
; %bb.626:                              ;   in Loop: Header=BB3_5 Depth=1
	s_bcnt1_i32_b64 s20, s[20:21]
	v_mov_b32_e32 v2, s20
	buffer_wbl2
	s_waitcnt vmcnt(0)
	global_atomic_add_x2 v[8:9], v[2:3], off offset:8
.LBB3_627:                              ;   in Loop: Header=BB3_5 Depth=1
	s_or_b64 exec, exec, s[18:19]
	s_waitcnt vmcnt(0)
	global_load_dwordx2 v[10:11], v[8:9], off offset:16
	s_waitcnt vmcnt(0)
	v_cmp_eq_u64_e32 vcc, 0, v[10:11]
	s_cbranch_vccnz .LBB3_629
; %bb.628:                              ;   in Loop: Header=BB3_5 Depth=1
	global_load_dword v34, v[8:9], off offset:24
	s_waitcnt vmcnt(0)
	v_and_b32_e32 v1, 0xffffff, v34
	v_readfirstlane_b32 m0, v1
	buffer_wbl2
	global_store_dwordx2 v[10:11], v[34:35], off
	s_sendmsg sendmsg(MSG_INTERRUPT)
.LBB3_629:                              ;   in Loop: Header=BB3_5 Depth=1
	s_or_b64 exec, exec, s[16:17]
	v_add_co_u32_e32 v4, vcc, v4, v46
	v_addc_co_u32_e32 v5, vcc, 0, v5, vcc
	s_branch .LBB3_633
.LBB3_630:                              ;   in Loop: Header=BB3_633 Depth=2
	s_or_b64 exec, exec, s[16:17]
	v_readfirstlane_b32 s16, v1
	s_cmp_eq_u32 s16, 0
	s_cbranch_scc1 .LBB3_632
; %bb.631:                              ;   in Loop: Header=BB3_633 Depth=2
	s_sleep 1
	s_cbranch_execnz .LBB3_633
	s_branch .LBB3_635
.LBB3_632:                              ;   in Loop: Header=BB3_5 Depth=1
	s_branch .LBB3_635
.LBB3_633:                              ;   Parent Loop BB3_5 Depth=1
                                        ; =>  This Inner Loop Header: Depth=2
	v_mov_b32_e32 v1, 1
	s_and_saveexec_b64 s[16:17], s[0:1]
	s_cbranch_execz .LBB3_630
; %bb.634:                              ;   in Loop: Header=BB3_633 Depth=2
	global_load_dword v1, v[12:13], off offset:20 glc
	s_waitcnt vmcnt(0)
	buffer_invl2
	buffer_wbinvl1_vol
	v_and_b32_e32 v1, 1, v1
	s_branch .LBB3_630
.LBB3_635:                              ;   in Loop: Header=BB3_5 Depth=1
	global_load_dwordx2 v[12:13], v[4:5], off
	s_and_saveexec_b64 s[16:17], s[0:1]
	s_cbranch_execz .LBB3_639
; %bb.636:                              ;   in Loop: Header=BB3_5 Depth=1
	global_load_dwordx2 v[4:5], v35, s[2:3] offset:40
	global_load_dwordx2 v[14:15], v35, s[2:3] offset:24 glc
	global_load_dwordx2 v[16:17], v35, s[2:3]
	v_mov_b32_e32 v1, s15
	s_waitcnt vmcnt(2)
	v_add_co_u32_e32 v2, vcc, 1, v4
	v_addc_co_u32_e32 v11, vcc, 0, v5, vcc
	v_add_co_u32_e32 v8, vcc, s14, v2
	v_addc_co_u32_e32 v9, vcc, v11, v1, vcc
	v_cmp_eq_u64_e32 vcc, 0, v[8:9]
	v_cndmask_b32_e32 v9, v9, v11, vcc
	v_cndmask_b32_e32 v8, v8, v2, vcc
	v_and_b32_e32 v1, v9, v5
	v_and_b32_e32 v2, v8, v4
	v_mul_lo_u32 v1, v1, 24
	v_mul_hi_u32 v4, v2, 24
	v_mul_lo_u32 v2, v2, 24
	v_add_u32_e32 v1, v4, v1
	s_waitcnt vmcnt(0)
	v_add_co_u32_e32 v4, vcc, v16, v2
	v_addc_co_u32_e32 v5, vcc, v17, v1, vcc
	v_mov_b32_e32 v10, v14
	global_store_dwordx2 v[4:5], v[14:15], off
	v_mov_b32_e32 v11, v15
	buffer_wbl2
	s_waitcnt vmcnt(0)
	global_atomic_cmpswap_x2 v[10:11], v35, v[8:11], s[2:3] offset:24 glc
	s_waitcnt vmcnt(0)
	v_cmp_ne_u64_e32 vcc, v[10:11], v[14:15]
	s_and_b64 exec, exec, vcc
	s_cbranch_execz .LBB3_639
; %bb.637:                              ;   in Loop: Header=BB3_5 Depth=1
	s_mov_b64 s[0:1], 0
.LBB3_638:                              ;   Parent Loop BB3_5 Depth=1
                                        ; =>  This Inner Loop Header: Depth=2
	s_sleep 1
	global_store_dwordx2 v[4:5], v[10:11], off
	buffer_wbl2
	s_waitcnt vmcnt(0)
	global_atomic_cmpswap_x2 v[14:15], v35, v[8:11], s[2:3] offset:24 glc
	s_waitcnt vmcnt(0)
	v_cmp_eq_u64_e32 vcc, v[14:15], v[10:11]
	s_or_b64 s[0:1], vcc, s[0:1]
	v_pk_mov_b32 v[10:11], v[14:15], v[14:15] op_sel:[0,1]
	s_andn2_b64 exec, exec, s[0:1]
	s_cbranch_execnz .LBB3_638
.LBB3_639:                              ;   in Loop: Header=BB3_5 Depth=1
	s_or_b64 exec, exec, s[16:17]
	s_and_b64 vcc, exec, s[6:7]
	s_cbranch_vccz .LBB3_809
; %bb.640:                              ;   in Loop: Header=BB3_5 Depth=1
	s_waitcnt vmcnt(0)
	v_and_b32_e32 v40, 2, v12
	v_and_b32_e32 v8, -3, v12
	v_mov_b32_e32 v9, v13
	s_mov_b64 s[16:17], 9
	s_getpc_b64 s[14:15]
	s_add_u32 s14, s14, .str.5@rel32@lo+4
	s_addc_u32 s15, s15, .str.5@rel32@hi+12
	s_branch .LBB3_642
.LBB3_641:                              ;   in Loop: Header=BB3_642 Depth=2
	s_or_b64 exec, exec, s[22:23]
	s_sub_u32 s16, s16, s18
	s_subb_u32 s17, s17, s19
	s_add_u32 s14, s14, s18
	s_addc_u32 s15, s15, s19
	s_cmp_lg_u64 s[16:17], 0
	s_cbranch_scc0 .LBB3_723
.LBB3_642:                              ;   Parent Loop BB3_5 Depth=1
                                        ; =>  This Loop Header: Depth=2
                                        ;       Child Loop BB3_645 Depth 3
                                        ;       Child Loop BB3_652 Depth 3
	;; [unrolled: 1-line block ×11, first 2 shown]
	v_cmp_lt_u64_e64 s[0:1], s[16:17], 56
	s_and_b64 s[0:1], s[0:1], exec
	v_cmp_gt_u64_e64 s[0:1], s[16:17], 7
	s_cselect_b32 s19, s17, 0
	s_cselect_b32 s18, s16, 56
	s_and_b64 vcc, exec, s[0:1]
	s_cbranch_vccnz .LBB3_647
; %bb.643:                              ;   in Loop: Header=BB3_642 Depth=2
	s_mov_b64 s[0:1], 0
	s_cmp_eq_u64 s[16:17], 0
	s_waitcnt vmcnt(0)
	v_pk_mov_b32 v[10:11], 0, 0
	s_cbranch_scc1 .LBB3_646
; %bb.644:                              ;   in Loop: Header=BB3_642 Depth=2
	s_lshl_b64 s[20:21], s[18:19], 3
	s_mov_b64 s[22:23], 0
	v_pk_mov_b32 v[10:11], 0, 0
	s_mov_b64 s[24:25], s[14:15]
.LBB3_645:                              ;   Parent Loop BB3_5 Depth=1
                                        ;     Parent Loop BB3_642 Depth=2
                                        ; =>    This Inner Loop Header: Depth=3
	global_load_ubyte v1, v35, s[24:25]
	s_waitcnt vmcnt(0)
	v_and_b32_e32 v34, 0xffff, v1
	v_lshlrev_b64 v[4:5], s22, v[34:35]
	s_add_u32 s22, s22, 8
	s_addc_u32 s23, s23, 0
	s_add_u32 s24, s24, 1
	s_addc_u32 s25, s25, 0
	v_or_b32_e32 v10, v4, v10
	s_cmp_lg_u32 s20, s22
	v_or_b32_e32 v11, v5, v11
	s_cbranch_scc1 .LBB3_645
.LBB3_646:                              ;   in Loop: Header=BB3_642 Depth=2
	s_mov_b32 s24, 0
	s_andn2_b64 vcc, exec, s[0:1]
	s_mov_b64 s[0:1], s[14:15]
	s_cbranch_vccz .LBB3_648
	s_branch .LBB3_649
.LBB3_647:                              ;   in Loop: Header=BB3_642 Depth=2
                                        ; implicit-def: $vgpr10_vgpr11
                                        ; implicit-def: $sgpr24
	s_mov_b64 s[0:1], s[14:15]
.LBB3_648:                              ;   in Loop: Header=BB3_642 Depth=2
	global_load_dwordx2 v[10:11], v35, s[14:15]
	s_add_i32 s24, s18, -8
	s_add_u32 s0, s14, 8
	s_addc_u32 s1, s15, 0
.LBB3_649:                              ;   in Loop: Header=BB3_642 Depth=2
	s_cmp_gt_u32 s24, 7
	s_cbranch_scc1 .LBB3_653
; %bb.650:                              ;   in Loop: Header=BB3_642 Depth=2
	s_cmp_eq_u32 s24, 0
	s_cbranch_scc1 .LBB3_654
; %bb.651:                              ;   in Loop: Header=BB3_642 Depth=2
	s_mov_b64 s[20:21], 0
	v_pk_mov_b32 v[14:15], 0, 0
	s_mov_b64 s[22:23], 0
.LBB3_652:                              ;   Parent Loop BB3_5 Depth=1
                                        ;     Parent Loop BB3_642 Depth=2
                                        ; =>    This Inner Loop Header: Depth=3
	s_add_u32 s26, s0, s22
	s_addc_u32 s27, s1, s23
	global_load_ubyte v1, v35, s[26:27]
	s_add_u32 s22, s22, 1
	s_addc_u32 s23, s23, 0
	s_waitcnt vmcnt(0)
	v_and_b32_e32 v34, 0xffff, v1
	v_lshlrev_b64 v[4:5], s20, v[34:35]
	s_add_u32 s20, s20, 8
	s_addc_u32 s21, s21, 0
	v_or_b32_e32 v14, v4, v14
	s_cmp_lg_u32 s24, s22
	v_or_b32_e32 v15, v5, v15
	s_cbranch_scc1 .LBB3_652
	s_branch .LBB3_655
.LBB3_653:                              ;   in Loop: Header=BB3_642 Depth=2
                                        ; implicit-def: $vgpr14_vgpr15
                                        ; implicit-def: $sgpr25
	s_branch .LBB3_656
.LBB3_654:                              ;   in Loop: Header=BB3_642 Depth=2
	v_pk_mov_b32 v[14:15], 0, 0
.LBB3_655:                              ;   in Loop: Header=BB3_642 Depth=2
	s_mov_b32 s25, 0
	s_cbranch_execnz .LBB3_657
.LBB3_656:                              ;   in Loop: Header=BB3_642 Depth=2
	global_load_dwordx2 v[14:15], v35, s[0:1]
	s_add_i32 s25, s24, -8
	s_add_u32 s0, s0, 8
	s_addc_u32 s1, s1, 0
.LBB3_657:                              ;   in Loop: Header=BB3_642 Depth=2
	s_cmp_gt_u32 s25, 7
	s_cbranch_scc1 .LBB3_661
; %bb.658:                              ;   in Loop: Header=BB3_642 Depth=2
	s_cmp_eq_u32 s25, 0
	s_cbranch_scc1 .LBB3_662
; %bb.659:                              ;   in Loop: Header=BB3_642 Depth=2
	s_mov_b64 s[20:21], 0
	v_pk_mov_b32 v[16:17], 0, 0
	s_mov_b64 s[22:23], 0
.LBB3_660:                              ;   Parent Loop BB3_5 Depth=1
                                        ;     Parent Loop BB3_642 Depth=2
                                        ; =>    This Inner Loop Header: Depth=3
	s_add_u32 s26, s0, s22
	s_addc_u32 s27, s1, s23
	global_load_ubyte v1, v35, s[26:27]
	s_add_u32 s22, s22, 1
	s_addc_u32 s23, s23, 0
	s_waitcnt vmcnt(0)
	v_and_b32_e32 v34, 0xffff, v1
	v_lshlrev_b64 v[4:5], s20, v[34:35]
	s_add_u32 s20, s20, 8
	s_addc_u32 s21, s21, 0
	v_or_b32_e32 v16, v4, v16
	s_cmp_lg_u32 s25, s22
	v_or_b32_e32 v17, v5, v17
	s_cbranch_scc1 .LBB3_660
	s_branch .LBB3_663
.LBB3_661:                              ;   in Loop: Header=BB3_642 Depth=2
                                        ; implicit-def: $sgpr24
	s_branch .LBB3_664
.LBB3_662:                              ;   in Loop: Header=BB3_642 Depth=2
	v_pk_mov_b32 v[16:17], 0, 0
.LBB3_663:                              ;   in Loop: Header=BB3_642 Depth=2
	s_mov_b32 s24, 0
	s_cbranch_execnz .LBB3_665
.LBB3_664:                              ;   in Loop: Header=BB3_642 Depth=2
	global_load_dwordx2 v[16:17], v35, s[0:1]
	s_add_i32 s24, s25, -8
	s_add_u32 s0, s0, 8
	s_addc_u32 s1, s1, 0
.LBB3_665:                              ;   in Loop: Header=BB3_642 Depth=2
	s_cmp_gt_u32 s24, 7
	s_cbranch_scc1 .LBB3_669
; %bb.666:                              ;   in Loop: Header=BB3_642 Depth=2
	s_cmp_eq_u32 s24, 0
	s_cbranch_scc1 .LBB3_670
; %bb.667:                              ;   in Loop: Header=BB3_642 Depth=2
	s_mov_b64 s[20:21], 0
	v_pk_mov_b32 v[18:19], 0, 0
	s_mov_b64 s[22:23], 0
.LBB3_668:                              ;   Parent Loop BB3_5 Depth=1
                                        ;     Parent Loop BB3_642 Depth=2
                                        ; =>    This Inner Loop Header: Depth=3
	s_add_u32 s26, s0, s22
	s_addc_u32 s27, s1, s23
	global_load_ubyte v1, v35, s[26:27]
	s_add_u32 s22, s22, 1
	s_addc_u32 s23, s23, 0
	s_waitcnt vmcnt(0)
	v_and_b32_e32 v34, 0xffff, v1
	v_lshlrev_b64 v[4:5], s20, v[34:35]
	s_add_u32 s20, s20, 8
	s_addc_u32 s21, s21, 0
	v_or_b32_e32 v18, v4, v18
	s_cmp_lg_u32 s24, s22
	v_or_b32_e32 v19, v5, v19
	s_cbranch_scc1 .LBB3_668
	s_branch .LBB3_671
.LBB3_669:                              ;   in Loop: Header=BB3_642 Depth=2
                                        ; implicit-def: $vgpr18_vgpr19
                                        ; implicit-def: $sgpr25
	s_branch .LBB3_672
.LBB3_670:                              ;   in Loop: Header=BB3_642 Depth=2
	v_pk_mov_b32 v[18:19], 0, 0
.LBB3_671:                              ;   in Loop: Header=BB3_642 Depth=2
	s_mov_b32 s25, 0
	s_cbranch_execnz .LBB3_673
.LBB3_672:                              ;   in Loop: Header=BB3_642 Depth=2
	global_load_dwordx2 v[18:19], v35, s[0:1]
	s_add_i32 s25, s24, -8
	s_add_u32 s0, s0, 8
	s_addc_u32 s1, s1, 0
.LBB3_673:                              ;   in Loop: Header=BB3_642 Depth=2
	s_cmp_gt_u32 s25, 7
	s_cbranch_scc1 .LBB3_677
; %bb.674:                              ;   in Loop: Header=BB3_642 Depth=2
	s_cmp_eq_u32 s25, 0
	s_cbranch_scc1 .LBB3_678
; %bb.675:                              ;   in Loop: Header=BB3_642 Depth=2
	s_mov_b64 s[20:21], 0
	v_pk_mov_b32 v[20:21], 0, 0
	s_mov_b64 s[22:23], 0
.LBB3_676:                              ;   Parent Loop BB3_5 Depth=1
                                        ;     Parent Loop BB3_642 Depth=2
                                        ; =>    This Inner Loop Header: Depth=3
	s_add_u32 s26, s0, s22
	s_addc_u32 s27, s1, s23
	global_load_ubyte v1, v35, s[26:27]
	s_add_u32 s22, s22, 1
	s_addc_u32 s23, s23, 0
	s_waitcnt vmcnt(0)
	v_and_b32_e32 v34, 0xffff, v1
	v_lshlrev_b64 v[4:5], s20, v[34:35]
	s_add_u32 s20, s20, 8
	s_addc_u32 s21, s21, 0
	v_or_b32_e32 v20, v4, v20
	s_cmp_lg_u32 s25, s22
	v_or_b32_e32 v21, v5, v21
	s_cbranch_scc1 .LBB3_676
	s_branch .LBB3_679
.LBB3_677:                              ;   in Loop: Header=BB3_642 Depth=2
                                        ; implicit-def: $sgpr24
	s_branch .LBB3_680
.LBB3_678:                              ;   in Loop: Header=BB3_642 Depth=2
	v_pk_mov_b32 v[20:21], 0, 0
.LBB3_679:                              ;   in Loop: Header=BB3_642 Depth=2
	s_mov_b32 s24, 0
	s_cbranch_execnz .LBB3_681
.LBB3_680:                              ;   in Loop: Header=BB3_642 Depth=2
	global_load_dwordx2 v[20:21], v35, s[0:1]
	s_add_i32 s24, s25, -8
	s_add_u32 s0, s0, 8
	s_addc_u32 s1, s1, 0
.LBB3_681:                              ;   in Loop: Header=BB3_642 Depth=2
	s_cmp_gt_u32 s24, 7
	s_cbranch_scc1 .LBB3_685
; %bb.682:                              ;   in Loop: Header=BB3_642 Depth=2
	s_cmp_eq_u32 s24, 0
	s_cbranch_scc1 .LBB3_686
; %bb.683:                              ;   in Loop: Header=BB3_642 Depth=2
	s_mov_b64 s[20:21], 0
	v_pk_mov_b32 v[22:23], 0, 0
	s_mov_b64 s[22:23], 0
.LBB3_684:                              ;   Parent Loop BB3_5 Depth=1
                                        ;     Parent Loop BB3_642 Depth=2
                                        ; =>    This Inner Loop Header: Depth=3
	s_add_u32 s26, s0, s22
	s_addc_u32 s27, s1, s23
	global_load_ubyte v1, v35, s[26:27]
	s_add_u32 s22, s22, 1
	s_addc_u32 s23, s23, 0
	s_waitcnt vmcnt(0)
	v_and_b32_e32 v34, 0xffff, v1
	v_lshlrev_b64 v[4:5], s20, v[34:35]
	s_add_u32 s20, s20, 8
	s_addc_u32 s21, s21, 0
	v_or_b32_e32 v22, v4, v22
	s_cmp_lg_u32 s24, s22
	v_or_b32_e32 v23, v5, v23
	s_cbranch_scc1 .LBB3_684
	s_branch .LBB3_687
.LBB3_685:                              ;   in Loop: Header=BB3_642 Depth=2
                                        ; implicit-def: $vgpr22_vgpr23
                                        ; implicit-def: $sgpr25
	s_branch .LBB3_688
.LBB3_686:                              ;   in Loop: Header=BB3_642 Depth=2
	v_pk_mov_b32 v[22:23], 0, 0
.LBB3_687:                              ;   in Loop: Header=BB3_642 Depth=2
	s_mov_b32 s25, 0
	s_cbranch_execnz .LBB3_689
.LBB3_688:                              ;   in Loop: Header=BB3_642 Depth=2
	global_load_dwordx2 v[22:23], v35, s[0:1]
	s_add_i32 s25, s24, -8
	s_add_u32 s0, s0, 8
	s_addc_u32 s1, s1, 0
.LBB3_689:                              ;   in Loop: Header=BB3_642 Depth=2
	s_cmp_gt_u32 s25, 7
	s_cbranch_scc1 .LBB3_693
; %bb.690:                              ;   in Loop: Header=BB3_642 Depth=2
	s_cmp_eq_u32 s25, 0
	s_cbranch_scc1 .LBB3_694
; %bb.691:                              ;   in Loop: Header=BB3_642 Depth=2
	s_mov_b64 s[20:21], 0
	v_pk_mov_b32 v[24:25], 0, 0
	s_mov_b64 s[22:23], s[0:1]
.LBB3_692:                              ;   Parent Loop BB3_5 Depth=1
                                        ;     Parent Loop BB3_642 Depth=2
                                        ; =>    This Inner Loop Header: Depth=3
	global_load_ubyte v1, v35, s[22:23]
	s_add_i32 s25, s25, -1
	s_waitcnt vmcnt(0)
	v_and_b32_e32 v34, 0xffff, v1
	v_lshlrev_b64 v[4:5], s20, v[34:35]
	s_add_u32 s20, s20, 8
	s_addc_u32 s21, s21, 0
	s_add_u32 s22, s22, 1
	s_addc_u32 s23, s23, 0
	v_or_b32_e32 v24, v4, v24
	s_cmp_lg_u32 s25, 0
	v_or_b32_e32 v25, v5, v25
	s_cbranch_scc1 .LBB3_692
	s_branch .LBB3_695
.LBB3_693:                              ;   in Loop: Header=BB3_642 Depth=2
	s_branch .LBB3_696
.LBB3_694:                              ;   in Loop: Header=BB3_642 Depth=2
	v_pk_mov_b32 v[24:25], 0, 0
.LBB3_695:                              ;   in Loop: Header=BB3_642 Depth=2
	s_cbranch_execnz .LBB3_697
.LBB3_696:                              ;   in Loop: Header=BB3_642 Depth=2
	global_load_dwordx2 v[24:25], v35, s[0:1]
.LBB3_697:                              ;   in Loop: Header=BB3_642 Depth=2
	v_readfirstlane_b32 s0, v32
	v_cmp_eq_u32_e64 s[0:1], s0, v32
	v_pk_mov_b32 v[4:5], 0, 0
	s_and_saveexec_b64 s[20:21], s[0:1]
	s_cbranch_execz .LBB3_703
; %bb.698:                              ;   in Loop: Header=BB3_642 Depth=2
	global_load_dwordx2 v[28:29], v35, s[2:3] offset:24 glc
	s_waitcnt vmcnt(0)
	buffer_invl2
	buffer_wbinvl1_vol
	global_load_dwordx2 v[4:5], v35, s[2:3] offset:40
	global_load_dwordx2 v[26:27], v35, s[2:3]
	s_waitcnt vmcnt(1)
	v_and_b32_e32 v1, v4, v28
	v_and_b32_e32 v2, v5, v29
	v_mul_lo_u32 v2, v2, 24
	v_mul_hi_u32 v4, v1, 24
	v_mul_lo_u32 v1, v1, 24
	v_add_u32_e32 v2, v4, v2
	s_waitcnt vmcnt(0)
	v_add_co_u32_e32 v4, vcc, v26, v1
	v_addc_co_u32_e32 v5, vcc, v27, v2, vcc
	global_load_dwordx2 v[26:27], v[4:5], off glc
	s_waitcnt vmcnt(0)
	global_atomic_cmpswap_x2 v[4:5], v35, v[26:29], s[2:3] offset:24 glc
	s_waitcnt vmcnt(0)
	buffer_invl2
	buffer_wbinvl1_vol
	v_cmp_ne_u64_e32 vcc, v[4:5], v[28:29]
	s_and_saveexec_b64 s[22:23], vcc
	s_cbranch_execz .LBB3_702
; %bb.699:                              ;   in Loop: Header=BB3_642 Depth=2
	s_mov_b64 s[24:25], 0
.LBB3_700:                              ;   Parent Loop BB3_5 Depth=1
                                        ;     Parent Loop BB3_642 Depth=2
                                        ; =>    This Inner Loop Header: Depth=3
	s_sleep 1
	global_load_dwordx2 v[26:27], v35, s[2:3] offset:40
	global_load_dwordx2 v[42:43], v35, s[2:3]
	v_pk_mov_b32 v[28:29], v[4:5], v[4:5] op_sel:[0,1]
	s_waitcnt vmcnt(1)
	v_and_b32_e32 v2, v26, v28
	s_waitcnt vmcnt(0)
	v_mad_u64_u32 v[4:5], s[26:27], v2, 24, v[42:43]
	v_and_b32_e32 v1, v27, v29
	v_mov_b32_e32 v2, v5
	v_mad_u64_u32 v[26:27], s[26:27], v1, 24, v[2:3]
	v_mov_b32_e32 v5, v26
	global_load_dwordx2 v[26:27], v[4:5], off glc
	s_waitcnt vmcnt(0)
	global_atomic_cmpswap_x2 v[4:5], v35, v[26:29], s[2:3] offset:24 glc
	s_waitcnt vmcnt(0)
	buffer_invl2
	buffer_wbinvl1_vol
	v_cmp_eq_u64_e32 vcc, v[4:5], v[28:29]
	s_or_b64 s[24:25], vcc, s[24:25]
	s_andn2_b64 exec, exec, s[24:25]
	s_cbranch_execnz .LBB3_700
; %bb.701:                              ;   in Loop: Header=BB3_642 Depth=2
	s_or_b64 exec, exec, s[24:25]
.LBB3_702:                              ;   in Loop: Header=BB3_642 Depth=2
	s_or_b64 exec, exec, s[22:23]
.LBB3_703:                              ;   in Loop: Header=BB3_642 Depth=2
	s_or_b64 exec, exec, s[20:21]
	global_load_dwordx2 v[42:43], v35, s[2:3] offset:40
	global_load_dwordx4 v[26:29], v35, s[2:3]
	v_readfirstlane_b32 s20, v4
	v_readfirstlane_b32 s21, v5
	s_mov_b64 s[22:23], exec
	s_waitcnt vmcnt(1)
	v_readfirstlane_b32 s24, v42
	v_readfirstlane_b32 s25, v43
	s_and_b64 s[24:25], s[20:21], s[24:25]
	s_mul_i32 s26, s25, 24
	s_mul_hi_u32 s27, s24, 24
	s_mul_i32 s33, s24, 24
	s_add_i32 s26, s27, s26
	v_mov_b32_e32 v1, s26
	s_waitcnt vmcnt(0)
	v_add_co_u32_e32 v42, vcc, s33, v26
	v_addc_co_u32_e32 v43, vcc, v27, v1, vcc
	s_and_saveexec_b64 s[26:27], s[0:1]
	s_cbranch_execz .LBB3_705
; %bb.704:                              ;   in Loop: Header=BB3_642 Depth=2
	v_pk_mov_b32 v[4:5], s[22:23], s[22:23] op_sel:[0,1]
	global_store_dwordx4 v[42:43], v[4:7], off offset:8
.LBB3_705:                              ;   in Loop: Header=BB3_642 Depth=2
	s_or_b64 exec, exec, s[26:27]
	s_lshl_b64 s[22:23], s[24:25], 12
	v_mov_b32_e32 v1, s23
	v_add_co_u32_e32 v4, vcc, s22, v28
	v_addc_co_u32_e32 v1, vcc, v29, v1, vcc
	v_or_b32_e32 v2, 0, v9
	v_or_b32_e32 v5, v8, v40
	v_cmp_gt_u64_e64 vcc, s[16:17], 56
	s_lshl_b32 s22, s18, 2
	v_cndmask_b32_e32 v9, v2, v9, vcc
	v_cndmask_b32_e32 v2, v5, v8, vcc
	s_add_i32 s22, s22, 28
	s_and_b32 s22, s22, 0x1e0
	v_and_b32_e32 v2, 0xffffff1f, v2
	v_or_b32_e32 v8, s22, v2
	v_readfirstlane_b32 s22, v4
	v_readfirstlane_b32 s23, v1
	s_nop 4
	global_store_dwordx4 v46, v[8:11], s[22:23]
	global_store_dwordx4 v46, v[14:17], s[22:23] offset:16
	global_store_dwordx4 v46, v[18:21], s[22:23] offset:32
	;; [unrolled: 1-line block ×3, first 2 shown]
	s_and_saveexec_b64 s[22:23], s[0:1]
	s_cbranch_execz .LBB3_713
; %bb.706:                              ;   in Loop: Header=BB3_642 Depth=2
	global_load_dwordx2 v[18:19], v35, s[2:3] offset:32 glc
	global_load_dwordx2 v[8:9], v35, s[2:3] offset:40
	v_mov_b32_e32 v16, s20
	v_mov_b32_e32 v17, s21
	s_waitcnt vmcnt(0)
	v_readfirstlane_b32 s24, v8
	v_readfirstlane_b32 s25, v9
	s_and_b64 s[24:25], s[24:25], s[20:21]
	s_mul_i32 s25, s25, 24
	s_mul_hi_u32 s26, s24, 24
	s_mul_i32 s24, s24, 24
	s_add_i32 s25, s26, s25
	v_mov_b32_e32 v2, s25
	v_add_co_u32_e32 v14, vcc, s24, v26
	v_addc_co_u32_e32 v15, vcc, v27, v2, vcc
	global_store_dwordx2 v[14:15], v[18:19], off
	buffer_wbl2
	s_waitcnt vmcnt(0)
	global_atomic_cmpswap_x2 v[10:11], v35, v[16:19], s[2:3] offset:32 glc
	s_waitcnt vmcnt(0)
	v_cmp_ne_u64_e32 vcc, v[10:11], v[18:19]
	s_and_saveexec_b64 s[24:25], vcc
	s_cbranch_execz .LBB3_709
; %bb.707:                              ;   in Loop: Header=BB3_642 Depth=2
	s_mov_b64 s[26:27], 0
.LBB3_708:                              ;   Parent Loop BB3_5 Depth=1
                                        ;     Parent Loop BB3_642 Depth=2
                                        ; =>    This Inner Loop Header: Depth=3
	s_sleep 1
	global_store_dwordx2 v[14:15], v[10:11], off
	v_mov_b32_e32 v8, s20
	v_mov_b32_e32 v9, s21
	buffer_wbl2
	s_waitcnt vmcnt(0)
	global_atomic_cmpswap_x2 v[8:9], v35, v[8:11], s[2:3] offset:32 glc
	s_waitcnt vmcnt(0)
	v_cmp_eq_u64_e32 vcc, v[8:9], v[10:11]
	s_or_b64 s[26:27], vcc, s[26:27]
	v_pk_mov_b32 v[10:11], v[8:9], v[8:9] op_sel:[0,1]
	s_andn2_b64 exec, exec, s[26:27]
	s_cbranch_execnz .LBB3_708
.LBB3_709:                              ;   in Loop: Header=BB3_642 Depth=2
	s_or_b64 exec, exec, s[24:25]
	global_load_dwordx2 v[8:9], v35, s[2:3] offset:16
	s_mov_b64 s[26:27], exec
	v_mbcnt_lo_u32_b32 v2, s26, 0
	v_mbcnt_hi_u32_b32 v2, s27, v2
	v_cmp_eq_u32_e32 vcc, 0, v2
	s_and_saveexec_b64 s[24:25], vcc
	s_cbranch_execz .LBB3_711
; %bb.710:                              ;   in Loop: Header=BB3_642 Depth=2
	s_bcnt1_i32_b64 s26, s[26:27]
	v_mov_b32_e32 v2, s26
	buffer_wbl2
	s_waitcnt vmcnt(0)
	global_atomic_add_x2 v[8:9], v[2:3], off offset:8
.LBB3_711:                              ;   in Loop: Header=BB3_642 Depth=2
	s_or_b64 exec, exec, s[24:25]
	s_waitcnt vmcnt(0)
	global_load_dwordx2 v[10:11], v[8:9], off offset:16
	s_waitcnt vmcnt(0)
	v_cmp_eq_u64_e32 vcc, 0, v[10:11]
	s_cbranch_vccnz .LBB3_713
; %bb.712:                              ;   in Loop: Header=BB3_642 Depth=2
	global_load_dword v34, v[8:9], off offset:24
	s_waitcnt vmcnt(0)
	v_and_b32_e32 v2, 0xffffff, v34
	v_readfirstlane_b32 m0, v2
	buffer_wbl2
	global_store_dwordx2 v[10:11], v[34:35], off
	s_sendmsg sendmsg(MSG_INTERRUPT)
.LBB3_713:                              ;   in Loop: Header=BB3_642 Depth=2
	s_or_b64 exec, exec, s[22:23]
	v_add_co_u32_e32 v4, vcc, v4, v46
	v_addc_co_u32_e32 v5, vcc, 0, v1, vcc
	s_branch .LBB3_717
.LBB3_714:                              ;   in Loop: Header=BB3_717 Depth=3
	s_or_b64 exec, exec, s[22:23]
	v_readfirstlane_b32 s22, v1
	s_cmp_eq_u32 s22, 0
	s_cbranch_scc1 .LBB3_716
; %bb.715:                              ;   in Loop: Header=BB3_717 Depth=3
	s_sleep 1
	s_cbranch_execnz .LBB3_717
	s_branch .LBB3_719
.LBB3_716:                              ;   in Loop: Header=BB3_642 Depth=2
	s_branch .LBB3_719
.LBB3_717:                              ;   Parent Loop BB3_5 Depth=1
                                        ;     Parent Loop BB3_642 Depth=2
                                        ; =>    This Inner Loop Header: Depth=3
	v_mov_b32_e32 v1, 1
	s_and_saveexec_b64 s[22:23], s[0:1]
	s_cbranch_execz .LBB3_714
; %bb.718:                              ;   in Loop: Header=BB3_717 Depth=3
	global_load_dword v1, v[42:43], off offset:20 glc
	s_waitcnt vmcnt(0)
	buffer_invl2
	buffer_wbinvl1_vol
	v_and_b32_e32 v1, 1, v1
	s_branch .LBB3_714
.LBB3_719:                              ;   in Loop: Header=BB3_642 Depth=2
	global_load_dwordx4 v[8:11], v[4:5], off
	s_and_saveexec_b64 s[22:23], s[0:1]
	s_cbranch_execz .LBB3_641
; %bb.720:                              ;   in Loop: Header=BB3_642 Depth=2
	global_load_dwordx2 v[4:5], v35, s[2:3] offset:40
	global_load_dwordx2 v[10:11], v35, s[2:3] offset:24 glc
	global_load_dwordx2 v[18:19], v35, s[2:3]
	v_mov_b32_e32 v1, s21
	s_waitcnt vmcnt(2)
	v_add_co_u32_e32 v2, vcc, 1, v4
	v_addc_co_u32_e32 v17, vcc, 0, v5, vcc
	v_add_co_u32_e32 v14, vcc, s20, v2
	v_addc_co_u32_e32 v15, vcc, v17, v1, vcc
	v_cmp_eq_u64_e32 vcc, 0, v[14:15]
	v_cndmask_b32_e32 v15, v15, v17, vcc
	v_cndmask_b32_e32 v14, v14, v2, vcc
	v_and_b32_e32 v1, v15, v5
	v_and_b32_e32 v2, v14, v4
	v_mul_lo_u32 v1, v1, 24
	v_mul_hi_u32 v4, v2, 24
	v_mul_lo_u32 v2, v2, 24
	v_add_u32_e32 v1, v4, v1
	s_waitcnt vmcnt(0)
	v_add_co_u32_e32 v4, vcc, v18, v2
	v_addc_co_u32_e32 v5, vcc, v19, v1, vcc
	v_mov_b32_e32 v16, v10
	global_store_dwordx2 v[4:5], v[10:11], off
	v_mov_b32_e32 v17, v11
	buffer_wbl2
	s_waitcnt vmcnt(0)
	global_atomic_cmpswap_x2 v[16:17], v35, v[14:17], s[2:3] offset:24 glc
	s_waitcnt vmcnt(0)
	v_cmp_ne_u64_e32 vcc, v[16:17], v[10:11]
	s_and_b64 exec, exec, vcc
	s_cbranch_execz .LBB3_641
; %bb.721:                              ;   in Loop: Header=BB3_642 Depth=2
	s_mov_b64 s[0:1], 0
.LBB3_722:                              ;   Parent Loop BB3_5 Depth=1
                                        ;     Parent Loop BB3_642 Depth=2
                                        ; =>    This Inner Loop Header: Depth=3
	s_sleep 1
	global_store_dwordx2 v[4:5], v[16:17], off
	buffer_wbl2
	s_waitcnt vmcnt(0)
	global_atomic_cmpswap_x2 v[10:11], v35, v[14:17], s[2:3] offset:24 glc
	s_waitcnt vmcnt(0)
	v_cmp_eq_u64_e32 vcc, v[10:11], v[16:17]
	s_or_b64 s[0:1], vcc, s[0:1]
	v_pk_mov_b32 v[16:17], v[10:11], v[10:11] op_sel:[0,1]
	s_andn2_b64 exec, exec, s[0:1]
	s_cbranch_execnz .LBB3_722
	s_branch .LBB3_641
.LBB3_723:                              ;   in Loop: Header=BB3_5 Depth=1
.LBB3_724:                              ;   in Loop: Header=BB3_5 Depth=1
	s_and_b64 vcc, exec, s[12:13]
	s_cbranch_vccz .LBB3_837
.LBB3_725:                              ;   in Loop: Header=BB3_5 Depth=1
	s_waitcnt vmcnt(0)
	v_and_b32_e32 v40, 2, v8
	v_and_b32_e32 v10, -3, v8
	v_mov_b32_e32 v11, v9
	s_mov_b64 s[16:17], 56
	s_getpc_b64 s[14:15]
	s_add_u32 s14, s14, .str.4@rel32@lo+4
	s_addc_u32 s15, s15, .str.4@rel32@hi+12
	s_branch .LBB3_727
.LBB3_726:                              ;   in Loop: Header=BB3_727 Depth=2
	s_or_b64 exec, exec, s[22:23]
	s_sub_u32 s16, s16, s18
	s_subb_u32 s17, s17, s19
	s_add_u32 s14, s14, s18
	s_addc_u32 s15, s15, s19
	s_cmp_lg_u64 s[16:17], 0
	s_cbranch_scc0 .LBB3_808
.LBB3_727:                              ;   Parent Loop BB3_5 Depth=1
                                        ; =>  This Loop Header: Depth=2
                                        ;       Child Loop BB3_730 Depth 3
                                        ;       Child Loop BB3_737 Depth 3
	;; [unrolled: 1-line block ×11, first 2 shown]
	v_cmp_lt_u64_e64 s[0:1], s[16:17], 56
	s_and_b64 s[0:1], s[0:1], exec
	v_cmp_gt_u64_e64 s[0:1], s[16:17], 7
	s_cselect_b32 s19, s17, 0
	s_cselect_b32 s18, s16, 56
	s_and_b64 vcc, exec, s[0:1]
	s_cbranch_vccnz .LBB3_732
; %bb.728:                              ;   in Loop: Header=BB3_727 Depth=2
	s_mov_b64 s[0:1], 0
	s_cmp_eq_u64 s[16:17], 0
	s_waitcnt vmcnt(0)
	v_pk_mov_b32 v[12:13], 0, 0
	s_cbranch_scc1 .LBB3_731
; %bb.729:                              ;   in Loop: Header=BB3_727 Depth=2
	s_lshl_b64 s[20:21], s[18:19], 3
	s_mov_b64 s[22:23], 0
	v_pk_mov_b32 v[12:13], 0, 0
	s_mov_b64 s[24:25], s[14:15]
.LBB3_730:                              ;   Parent Loop BB3_5 Depth=1
                                        ;     Parent Loop BB3_727 Depth=2
                                        ; =>    This Inner Loop Header: Depth=3
	global_load_ubyte v1, v35, s[24:25]
	s_waitcnt vmcnt(0)
	v_and_b32_e32 v34, 0xffff, v1
	v_lshlrev_b64 v[4:5], s22, v[34:35]
	s_add_u32 s22, s22, 8
	s_addc_u32 s23, s23, 0
	s_add_u32 s24, s24, 1
	s_addc_u32 s25, s25, 0
	v_or_b32_e32 v12, v4, v12
	s_cmp_lg_u32 s20, s22
	v_or_b32_e32 v13, v5, v13
	s_cbranch_scc1 .LBB3_730
.LBB3_731:                              ;   in Loop: Header=BB3_727 Depth=2
	s_mov_b32 s24, 0
	s_andn2_b64 vcc, exec, s[0:1]
	s_mov_b64 s[0:1], s[14:15]
	s_cbranch_vccz .LBB3_733
	s_branch .LBB3_734
.LBB3_732:                              ;   in Loop: Header=BB3_727 Depth=2
                                        ; implicit-def: $vgpr12_vgpr13
                                        ; implicit-def: $sgpr24
	s_mov_b64 s[0:1], s[14:15]
.LBB3_733:                              ;   in Loop: Header=BB3_727 Depth=2
	global_load_dwordx2 v[12:13], v35, s[14:15]
	s_add_i32 s24, s18, -8
	s_add_u32 s0, s14, 8
	s_addc_u32 s1, s15, 0
.LBB3_734:                              ;   in Loop: Header=BB3_727 Depth=2
	s_cmp_gt_u32 s24, 7
	s_cbranch_scc1 .LBB3_738
; %bb.735:                              ;   in Loop: Header=BB3_727 Depth=2
	s_cmp_eq_u32 s24, 0
	s_cbranch_scc1 .LBB3_739
; %bb.736:                              ;   in Loop: Header=BB3_727 Depth=2
	s_mov_b64 s[20:21], 0
	v_pk_mov_b32 v[14:15], 0, 0
	s_mov_b64 s[22:23], 0
.LBB3_737:                              ;   Parent Loop BB3_5 Depth=1
                                        ;     Parent Loop BB3_727 Depth=2
                                        ; =>    This Inner Loop Header: Depth=3
	s_add_u32 s26, s0, s22
	s_addc_u32 s27, s1, s23
	global_load_ubyte v1, v35, s[26:27]
	s_add_u32 s22, s22, 1
	s_addc_u32 s23, s23, 0
	s_waitcnt vmcnt(0)
	v_and_b32_e32 v34, 0xffff, v1
	v_lshlrev_b64 v[4:5], s20, v[34:35]
	s_add_u32 s20, s20, 8
	s_addc_u32 s21, s21, 0
	v_or_b32_e32 v14, v4, v14
	s_cmp_lg_u32 s24, s22
	v_or_b32_e32 v15, v5, v15
	s_cbranch_scc1 .LBB3_737
	s_branch .LBB3_740
.LBB3_738:                              ;   in Loop: Header=BB3_727 Depth=2
                                        ; implicit-def: $vgpr14_vgpr15
                                        ; implicit-def: $sgpr25
	s_branch .LBB3_741
.LBB3_739:                              ;   in Loop: Header=BB3_727 Depth=2
	v_pk_mov_b32 v[14:15], 0, 0
.LBB3_740:                              ;   in Loop: Header=BB3_727 Depth=2
	s_mov_b32 s25, 0
	s_cbranch_execnz .LBB3_742
.LBB3_741:                              ;   in Loop: Header=BB3_727 Depth=2
	global_load_dwordx2 v[14:15], v35, s[0:1]
	s_add_i32 s25, s24, -8
	s_add_u32 s0, s0, 8
	s_addc_u32 s1, s1, 0
.LBB3_742:                              ;   in Loop: Header=BB3_727 Depth=2
	s_cmp_gt_u32 s25, 7
	s_cbranch_scc1 .LBB3_746
; %bb.743:                              ;   in Loop: Header=BB3_727 Depth=2
	s_cmp_eq_u32 s25, 0
	s_cbranch_scc1 .LBB3_747
; %bb.744:                              ;   in Loop: Header=BB3_727 Depth=2
	s_mov_b64 s[20:21], 0
	v_pk_mov_b32 v[16:17], 0, 0
	s_mov_b64 s[22:23], 0
.LBB3_745:                              ;   Parent Loop BB3_5 Depth=1
                                        ;     Parent Loop BB3_727 Depth=2
                                        ; =>    This Inner Loop Header: Depth=3
	s_add_u32 s26, s0, s22
	s_addc_u32 s27, s1, s23
	global_load_ubyte v1, v35, s[26:27]
	s_add_u32 s22, s22, 1
	s_addc_u32 s23, s23, 0
	s_waitcnt vmcnt(0)
	v_and_b32_e32 v34, 0xffff, v1
	v_lshlrev_b64 v[4:5], s20, v[34:35]
	s_add_u32 s20, s20, 8
	s_addc_u32 s21, s21, 0
	v_or_b32_e32 v16, v4, v16
	s_cmp_lg_u32 s25, s22
	v_or_b32_e32 v17, v5, v17
	s_cbranch_scc1 .LBB3_745
	s_branch .LBB3_748
.LBB3_746:                              ;   in Loop: Header=BB3_727 Depth=2
                                        ; implicit-def: $sgpr24
	s_branch .LBB3_749
.LBB3_747:                              ;   in Loop: Header=BB3_727 Depth=2
	v_pk_mov_b32 v[16:17], 0, 0
.LBB3_748:                              ;   in Loop: Header=BB3_727 Depth=2
	s_mov_b32 s24, 0
	s_cbranch_execnz .LBB3_750
.LBB3_749:                              ;   in Loop: Header=BB3_727 Depth=2
	global_load_dwordx2 v[16:17], v35, s[0:1]
	s_add_i32 s24, s25, -8
	s_add_u32 s0, s0, 8
	s_addc_u32 s1, s1, 0
.LBB3_750:                              ;   in Loop: Header=BB3_727 Depth=2
	s_cmp_gt_u32 s24, 7
	s_cbranch_scc1 .LBB3_754
; %bb.751:                              ;   in Loop: Header=BB3_727 Depth=2
	s_cmp_eq_u32 s24, 0
	s_cbranch_scc1 .LBB3_755
; %bb.752:                              ;   in Loop: Header=BB3_727 Depth=2
	s_mov_b64 s[20:21], 0
	v_pk_mov_b32 v[18:19], 0, 0
	s_mov_b64 s[22:23], 0
.LBB3_753:                              ;   Parent Loop BB3_5 Depth=1
                                        ;     Parent Loop BB3_727 Depth=2
                                        ; =>    This Inner Loop Header: Depth=3
	s_add_u32 s26, s0, s22
	s_addc_u32 s27, s1, s23
	global_load_ubyte v1, v35, s[26:27]
	s_add_u32 s22, s22, 1
	s_addc_u32 s23, s23, 0
	s_waitcnt vmcnt(0)
	v_and_b32_e32 v34, 0xffff, v1
	v_lshlrev_b64 v[4:5], s20, v[34:35]
	s_add_u32 s20, s20, 8
	s_addc_u32 s21, s21, 0
	v_or_b32_e32 v18, v4, v18
	s_cmp_lg_u32 s24, s22
	v_or_b32_e32 v19, v5, v19
	s_cbranch_scc1 .LBB3_753
	s_branch .LBB3_756
.LBB3_754:                              ;   in Loop: Header=BB3_727 Depth=2
                                        ; implicit-def: $vgpr18_vgpr19
                                        ; implicit-def: $sgpr25
	s_branch .LBB3_757
.LBB3_755:                              ;   in Loop: Header=BB3_727 Depth=2
	v_pk_mov_b32 v[18:19], 0, 0
.LBB3_756:                              ;   in Loop: Header=BB3_727 Depth=2
	s_mov_b32 s25, 0
	s_cbranch_execnz .LBB3_758
.LBB3_757:                              ;   in Loop: Header=BB3_727 Depth=2
	global_load_dwordx2 v[18:19], v35, s[0:1]
	s_add_i32 s25, s24, -8
	s_add_u32 s0, s0, 8
	s_addc_u32 s1, s1, 0
.LBB3_758:                              ;   in Loop: Header=BB3_727 Depth=2
	s_cmp_gt_u32 s25, 7
	s_cbranch_scc1 .LBB3_762
; %bb.759:                              ;   in Loop: Header=BB3_727 Depth=2
	s_cmp_eq_u32 s25, 0
	s_cbranch_scc1 .LBB3_763
; %bb.760:                              ;   in Loop: Header=BB3_727 Depth=2
	s_mov_b64 s[20:21], 0
	v_pk_mov_b32 v[20:21], 0, 0
	s_mov_b64 s[22:23], 0
.LBB3_761:                              ;   Parent Loop BB3_5 Depth=1
                                        ;     Parent Loop BB3_727 Depth=2
                                        ; =>    This Inner Loop Header: Depth=3
	s_add_u32 s26, s0, s22
	s_addc_u32 s27, s1, s23
	global_load_ubyte v1, v35, s[26:27]
	s_add_u32 s22, s22, 1
	s_addc_u32 s23, s23, 0
	s_waitcnt vmcnt(0)
	v_and_b32_e32 v34, 0xffff, v1
	v_lshlrev_b64 v[4:5], s20, v[34:35]
	s_add_u32 s20, s20, 8
	s_addc_u32 s21, s21, 0
	v_or_b32_e32 v20, v4, v20
	s_cmp_lg_u32 s25, s22
	v_or_b32_e32 v21, v5, v21
	s_cbranch_scc1 .LBB3_761
	s_branch .LBB3_764
.LBB3_762:                              ;   in Loop: Header=BB3_727 Depth=2
                                        ; implicit-def: $sgpr24
	s_branch .LBB3_765
.LBB3_763:                              ;   in Loop: Header=BB3_727 Depth=2
	v_pk_mov_b32 v[20:21], 0, 0
.LBB3_764:                              ;   in Loop: Header=BB3_727 Depth=2
	s_mov_b32 s24, 0
	s_cbranch_execnz .LBB3_766
.LBB3_765:                              ;   in Loop: Header=BB3_727 Depth=2
	global_load_dwordx2 v[20:21], v35, s[0:1]
	s_add_i32 s24, s25, -8
	s_add_u32 s0, s0, 8
	s_addc_u32 s1, s1, 0
.LBB3_766:                              ;   in Loop: Header=BB3_727 Depth=2
	s_cmp_gt_u32 s24, 7
	s_cbranch_scc1 .LBB3_770
; %bb.767:                              ;   in Loop: Header=BB3_727 Depth=2
	s_cmp_eq_u32 s24, 0
	s_cbranch_scc1 .LBB3_771
; %bb.768:                              ;   in Loop: Header=BB3_727 Depth=2
	s_mov_b64 s[20:21], 0
	v_pk_mov_b32 v[22:23], 0, 0
	s_mov_b64 s[22:23], 0
.LBB3_769:                              ;   Parent Loop BB3_5 Depth=1
                                        ;     Parent Loop BB3_727 Depth=2
                                        ; =>    This Inner Loop Header: Depth=3
	s_add_u32 s26, s0, s22
	s_addc_u32 s27, s1, s23
	global_load_ubyte v1, v35, s[26:27]
	s_add_u32 s22, s22, 1
	s_addc_u32 s23, s23, 0
	s_waitcnt vmcnt(0)
	v_and_b32_e32 v34, 0xffff, v1
	v_lshlrev_b64 v[4:5], s20, v[34:35]
	s_add_u32 s20, s20, 8
	s_addc_u32 s21, s21, 0
	v_or_b32_e32 v22, v4, v22
	s_cmp_lg_u32 s24, s22
	v_or_b32_e32 v23, v5, v23
	s_cbranch_scc1 .LBB3_769
	s_branch .LBB3_772
.LBB3_770:                              ;   in Loop: Header=BB3_727 Depth=2
                                        ; implicit-def: $vgpr22_vgpr23
                                        ; implicit-def: $sgpr25
	s_branch .LBB3_773
.LBB3_771:                              ;   in Loop: Header=BB3_727 Depth=2
	v_pk_mov_b32 v[22:23], 0, 0
.LBB3_772:                              ;   in Loop: Header=BB3_727 Depth=2
	s_mov_b32 s25, 0
	s_cbranch_execnz .LBB3_774
.LBB3_773:                              ;   in Loop: Header=BB3_727 Depth=2
	global_load_dwordx2 v[22:23], v35, s[0:1]
	s_add_i32 s25, s24, -8
	s_add_u32 s0, s0, 8
	s_addc_u32 s1, s1, 0
.LBB3_774:                              ;   in Loop: Header=BB3_727 Depth=2
	s_cmp_gt_u32 s25, 7
	s_cbranch_scc1 .LBB3_778
; %bb.775:                              ;   in Loop: Header=BB3_727 Depth=2
	s_cmp_eq_u32 s25, 0
	s_cbranch_scc1 .LBB3_779
; %bb.776:                              ;   in Loop: Header=BB3_727 Depth=2
	s_mov_b64 s[20:21], 0
	v_pk_mov_b32 v[24:25], 0, 0
	s_mov_b64 s[22:23], s[0:1]
.LBB3_777:                              ;   Parent Loop BB3_5 Depth=1
                                        ;     Parent Loop BB3_727 Depth=2
                                        ; =>    This Inner Loop Header: Depth=3
	global_load_ubyte v1, v35, s[22:23]
	s_add_i32 s25, s25, -1
	s_waitcnt vmcnt(0)
	v_and_b32_e32 v34, 0xffff, v1
	v_lshlrev_b64 v[4:5], s20, v[34:35]
	s_add_u32 s20, s20, 8
	s_addc_u32 s21, s21, 0
	s_add_u32 s22, s22, 1
	s_addc_u32 s23, s23, 0
	v_or_b32_e32 v24, v4, v24
	s_cmp_lg_u32 s25, 0
	v_or_b32_e32 v25, v5, v25
	s_cbranch_scc1 .LBB3_777
	s_branch .LBB3_780
.LBB3_778:                              ;   in Loop: Header=BB3_727 Depth=2
	s_branch .LBB3_781
.LBB3_779:                              ;   in Loop: Header=BB3_727 Depth=2
	v_pk_mov_b32 v[24:25], 0, 0
.LBB3_780:                              ;   in Loop: Header=BB3_727 Depth=2
	s_cbranch_execnz .LBB3_782
.LBB3_781:                              ;   in Loop: Header=BB3_727 Depth=2
	global_load_dwordx2 v[24:25], v35, s[0:1]
.LBB3_782:                              ;   in Loop: Header=BB3_727 Depth=2
	v_readfirstlane_b32 s0, v32
	v_cmp_eq_u32_e64 s[0:1], s0, v32
	v_pk_mov_b32 v[4:5], 0, 0
	s_and_saveexec_b64 s[20:21], s[0:1]
	s_cbranch_execz .LBB3_788
; %bb.783:                              ;   in Loop: Header=BB3_727 Depth=2
	global_load_dwordx2 v[28:29], v35, s[2:3] offset:24 glc
	s_waitcnt vmcnt(0)
	buffer_invl2
	buffer_wbinvl1_vol
	global_load_dwordx2 v[4:5], v35, s[2:3] offset:40
	global_load_dwordx2 v[26:27], v35, s[2:3]
	s_waitcnt vmcnt(1)
	v_and_b32_e32 v1, v4, v28
	v_and_b32_e32 v2, v5, v29
	v_mul_lo_u32 v2, v2, 24
	v_mul_hi_u32 v4, v1, 24
	v_mul_lo_u32 v1, v1, 24
	v_add_u32_e32 v2, v4, v2
	s_waitcnt vmcnt(0)
	v_add_co_u32_e32 v4, vcc, v26, v1
	v_addc_co_u32_e32 v5, vcc, v27, v2, vcc
	global_load_dwordx2 v[26:27], v[4:5], off glc
	s_waitcnt vmcnt(0)
	global_atomic_cmpswap_x2 v[4:5], v35, v[26:29], s[2:3] offset:24 glc
	s_waitcnt vmcnt(0)
	buffer_invl2
	buffer_wbinvl1_vol
	v_cmp_ne_u64_e32 vcc, v[4:5], v[28:29]
	s_and_saveexec_b64 s[22:23], vcc
	s_cbranch_execz .LBB3_787
; %bb.784:                              ;   in Loop: Header=BB3_727 Depth=2
	s_mov_b64 s[24:25], 0
.LBB3_785:                              ;   Parent Loop BB3_5 Depth=1
                                        ;     Parent Loop BB3_727 Depth=2
                                        ; =>    This Inner Loop Header: Depth=3
	s_sleep 1
	global_load_dwordx2 v[26:27], v35, s[2:3] offset:40
	global_load_dwordx2 v[42:43], v35, s[2:3]
	v_pk_mov_b32 v[28:29], v[4:5], v[4:5] op_sel:[0,1]
	s_waitcnt vmcnt(1)
	v_and_b32_e32 v2, v26, v28
	s_waitcnt vmcnt(0)
	v_mad_u64_u32 v[4:5], s[26:27], v2, 24, v[42:43]
	v_and_b32_e32 v1, v27, v29
	v_mov_b32_e32 v2, v5
	v_mad_u64_u32 v[26:27], s[26:27], v1, 24, v[2:3]
	v_mov_b32_e32 v5, v26
	global_load_dwordx2 v[26:27], v[4:5], off glc
	s_waitcnt vmcnt(0)
	global_atomic_cmpswap_x2 v[4:5], v35, v[26:29], s[2:3] offset:24 glc
	s_waitcnt vmcnt(0)
	buffer_invl2
	buffer_wbinvl1_vol
	v_cmp_eq_u64_e32 vcc, v[4:5], v[28:29]
	s_or_b64 s[24:25], vcc, s[24:25]
	s_andn2_b64 exec, exec, s[24:25]
	s_cbranch_execnz .LBB3_785
; %bb.786:                              ;   in Loop: Header=BB3_727 Depth=2
	s_or_b64 exec, exec, s[24:25]
.LBB3_787:                              ;   in Loop: Header=BB3_727 Depth=2
	s_or_b64 exec, exec, s[22:23]
.LBB3_788:                              ;   in Loop: Header=BB3_727 Depth=2
	s_or_b64 exec, exec, s[20:21]
	global_load_dwordx2 v[42:43], v35, s[2:3] offset:40
	global_load_dwordx4 v[26:29], v35, s[2:3]
	v_readfirstlane_b32 s20, v4
	v_readfirstlane_b32 s21, v5
	s_mov_b64 s[22:23], exec
	s_waitcnt vmcnt(1)
	v_readfirstlane_b32 s24, v42
	v_readfirstlane_b32 s25, v43
	s_and_b64 s[24:25], s[20:21], s[24:25]
	s_mul_i32 s26, s25, 24
	s_mul_hi_u32 s27, s24, 24
	s_mul_i32 s33, s24, 24
	s_add_i32 s26, s27, s26
	v_mov_b32_e32 v1, s26
	s_waitcnt vmcnt(0)
	v_add_co_u32_e32 v42, vcc, s33, v26
	v_addc_co_u32_e32 v43, vcc, v27, v1, vcc
	s_and_saveexec_b64 s[26:27], s[0:1]
	s_cbranch_execz .LBB3_790
; %bb.789:                              ;   in Loop: Header=BB3_727 Depth=2
	v_pk_mov_b32 v[4:5], s[22:23], s[22:23] op_sel:[0,1]
	global_store_dwordx4 v[42:43], v[4:7], off offset:8
.LBB3_790:                              ;   in Loop: Header=BB3_727 Depth=2
	s_or_b64 exec, exec, s[26:27]
	s_lshl_b64 s[22:23], s[24:25], 12
	v_mov_b32_e32 v1, s23
	v_add_co_u32_e32 v4, vcc, s22, v28
	v_addc_co_u32_e32 v1, vcc, v29, v1, vcc
	v_or_b32_e32 v2, 0, v11
	v_or_b32_e32 v5, v10, v40
	v_cmp_gt_u64_e64 vcc, s[16:17], 56
	s_lshl_b32 s22, s18, 2
	v_cndmask_b32_e32 v11, v2, v11, vcc
	v_cndmask_b32_e32 v2, v5, v10, vcc
	s_add_i32 s22, s22, 28
	s_and_b32 s22, s22, 0x1e0
	v_and_b32_e32 v2, 0xffffff1f, v2
	v_or_b32_e32 v10, s22, v2
	v_readfirstlane_b32 s22, v4
	v_readfirstlane_b32 s23, v1
	s_nop 4
	global_store_dwordx4 v46, v[10:13], s[22:23]
	global_store_dwordx4 v46, v[14:17], s[22:23] offset:16
	global_store_dwordx4 v46, v[18:21], s[22:23] offset:32
	;; [unrolled: 1-line block ×3, first 2 shown]
	s_and_saveexec_b64 s[22:23], s[0:1]
	s_cbranch_execz .LBB3_798
; %bb.791:                              ;   in Loop: Header=BB3_727 Depth=2
	global_load_dwordx2 v[18:19], v35, s[2:3] offset:32 glc
	global_load_dwordx2 v[10:11], v35, s[2:3] offset:40
	v_mov_b32_e32 v16, s20
	v_mov_b32_e32 v17, s21
	s_waitcnt vmcnt(0)
	v_readfirstlane_b32 s24, v10
	v_readfirstlane_b32 s25, v11
	s_and_b64 s[24:25], s[24:25], s[20:21]
	s_mul_i32 s25, s25, 24
	s_mul_hi_u32 s26, s24, 24
	s_mul_i32 s24, s24, 24
	s_add_i32 s25, s26, s25
	v_mov_b32_e32 v2, s25
	v_add_co_u32_e32 v14, vcc, s24, v26
	v_addc_co_u32_e32 v15, vcc, v27, v2, vcc
	global_store_dwordx2 v[14:15], v[18:19], off
	buffer_wbl2
	s_waitcnt vmcnt(0)
	global_atomic_cmpswap_x2 v[12:13], v35, v[16:19], s[2:3] offset:32 glc
	s_waitcnt vmcnt(0)
	v_cmp_ne_u64_e32 vcc, v[12:13], v[18:19]
	s_and_saveexec_b64 s[24:25], vcc
	s_cbranch_execz .LBB3_794
; %bb.792:                              ;   in Loop: Header=BB3_727 Depth=2
	s_mov_b64 s[26:27], 0
.LBB3_793:                              ;   Parent Loop BB3_5 Depth=1
                                        ;     Parent Loop BB3_727 Depth=2
                                        ; =>    This Inner Loop Header: Depth=3
	s_sleep 1
	global_store_dwordx2 v[14:15], v[12:13], off
	v_mov_b32_e32 v10, s20
	v_mov_b32_e32 v11, s21
	buffer_wbl2
	s_waitcnt vmcnt(0)
	global_atomic_cmpswap_x2 v[10:11], v35, v[10:13], s[2:3] offset:32 glc
	s_waitcnt vmcnt(0)
	v_cmp_eq_u64_e32 vcc, v[10:11], v[12:13]
	s_or_b64 s[26:27], vcc, s[26:27]
	v_pk_mov_b32 v[12:13], v[10:11], v[10:11] op_sel:[0,1]
	s_andn2_b64 exec, exec, s[26:27]
	s_cbranch_execnz .LBB3_793
.LBB3_794:                              ;   in Loop: Header=BB3_727 Depth=2
	s_or_b64 exec, exec, s[24:25]
	global_load_dwordx2 v[10:11], v35, s[2:3] offset:16
	s_mov_b64 s[26:27], exec
	v_mbcnt_lo_u32_b32 v2, s26, 0
	v_mbcnt_hi_u32_b32 v2, s27, v2
	v_cmp_eq_u32_e32 vcc, 0, v2
	s_and_saveexec_b64 s[24:25], vcc
	s_cbranch_execz .LBB3_796
; %bb.795:                              ;   in Loop: Header=BB3_727 Depth=2
	s_bcnt1_i32_b64 s26, s[26:27]
	v_mov_b32_e32 v2, s26
	buffer_wbl2
	s_waitcnt vmcnt(0)
	global_atomic_add_x2 v[10:11], v[2:3], off offset:8
.LBB3_796:                              ;   in Loop: Header=BB3_727 Depth=2
	s_or_b64 exec, exec, s[24:25]
	s_waitcnt vmcnt(0)
	global_load_dwordx2 v[12:13], v[10:11], off offset:16
	s_waitcnt vmcnt(0)
	v_cmp_eq_u64_e32 vcc, 0, v[12:13]
	s_cbranch_vccnz .LBB3_798
; %bb.797:                              ;   in Loop: Header=BB3_727 Depth=2
	global_load_dword v34, v[10:11], off offset:24
	s_waitcnt vmcnt(0)
	v_and_b32_e32 v2, 0xffffff, v34
	v_readfirstlane_b32 m0, v2
	buffer_wbl2
	global_store_dwordx2 v[12:13], v[34:35], off
	s_sendmsg sendmsg(MSG_INTERRUPT)
.LBB3_798:                              ;   in Loop: Header=BB3_727 Depth=2
	s_or_b64 exec, exec, s[22:23]
	v_add_co_u32_e32 v4, vcc, v4, v46
	v_addc_co_u32_e32 v5, vcc, 0, v1, vcc
	s_branch .LBB3_802
.LBB3_799:                              ;   in Loop: Header=BB3_802 Depth=3
	s_or_b64 exec, exec, s[22:23]
	v_readfirstlane_b32 s22, v1
	s_cmp_eq_u32 s22, 0
	s_cbranch_scc1 .LBB3_801
; %bb.800:                              ;   in Loop: Header=BB3_802 Depth=3
	s_sleep 1
	s_cbranch_execnz .LBB3_802
	s_branch .LBB3_804
.LBB3_801:                              ;   in Loop: Header=BB3_727 Depth=2
	s_branch .LBB3_804
.LBB3_802:                              ;   Parent Loop BB3_5 Depth=1
                                        ;     Parent Loop BB3_727 Depth=2
                                        ; =>    This Inner Loop Header: Depth=3
	v_mov_b32_e32 v1, 1
	s_and_saveexec_b64 s[22:23], s[0:1]
	s_cbranch_execz .LBB3_799
; %bb.803:                              ;   in Loop: Header=BB3_802 Depth=3
	global_load_dword v1, v[42:43], off offset:20 glc
	s_waitcnt vmcnt(0)
	buffer_invl2
	buffer_wbinvl1_vol
	v_and_b32_e32 v1, 1, v1
	s_branch .LBB3_799
.LBB3_804:                              ;   in Loop: Header=BB3_727 Depth=2
	global_load_dwordx4 v[10:13], v[4:5], off
	s_and_saveexec_b64 s[22:23], s[0:1]
	s_cbranch_execz .LBB3_726
; %bb.805:                              ;   in Loop: Header=BB3_727 Depth=2
	global_load_dwordx2 v[4:5], v35, s[2:3] offset:40
	global_load_dwordx2 v[16:17], v35, s[2:3] offset:24 glc
	global_load_dwordx2 v[18:19], v35, s[2:3]
	v_mov_b32_e32 v1, s21
	s_waitcnt vmcnt(2)
	v_add_co_u32_e32 v2, vcc, 1, v4
	v_addc_co_u32_e32 v15, vcc, 0, v5, vcc
	v_add_co_u32_e32 v12, vcc, s20, v2
	v_addc_co_u32_e32 v13, vcc, v15, v1, vcc
	v_cmp_eq_u64_e32 vcc, 0, v[12:13]
	v_cndmask_b32_e32 v13, v13, v15, vcc
	v_cndmask_b32_e32 v12, v12, v2, vcc
	v_and_b32_e32 v1, v13, v5
	v_and_b32_e32 v2, v12, v4
	v_mul_lo_u32 v1, v1, 24
	v_mul_hi_u32 v4, v2, 24
	v_mul_lo_u32 v2, v2, 24
	v_add_u32_e32 v1, v4, v1
	s_waitcnt vmcnt(0)
	v_add_co_u32_e32 v4, vcc, v18, v2
	v_addc_co_u32_e32 v5, vcc, v19, v1, vcc
	v_mov_b32_e32 v14, v16
	global_store_dwordx2 v[4:5], v[16:17], off
	v_mov_b32_e32 v15, v17
	buffer_wbl2
	s_waitcnt vmcnt(0)
	global_atomic_cmpswap_x2 v[14:15], v35, v[12:15], s[2:3] offset:24 glc
	s_waitcnt vmcnt(0)
	v_cmp_ne_u64_e32 vcc, v[14:15], v[16:17]
	s_and_b64 exec, exec, vcc
	s_cbranch_execz .LBB3_726
; %bb.806:                              ;   in Loop: Header=BB3_727 Depth=2
	s_mov_b64 s[0:1], 0
.LBB3_807:                              ;   Parent Loop BB3_5 Depth=1
                                        ;     Parent Loop BB3_727 Depth=2
                                        ; =>    This Inner Loop Header: Depth=3
	s_sleep 1
	global_store_dwordx2 v[4:5], v[14:15], off
	buffer_wbl2
	s_waitcnt vmcnt(0)
	global_atomic_cmpswap_x2 v[16:17], v35, v[12:15], s[2:3] offset:24 glc
	s_waitcnt vmcnt(0)
	v_cmp_eq_u64_e32 vcc, v[16:17], v[14:15]
	s_or_b64 s[0:1], vcc, s[0:1]
	v_pk_mov_b32 v[14:15], v[16:17], v[16:17] op_sel:[0,1]
	s_andn2_b64 exec, exec, s[0:1]
	s_cbranch_execnz .LBB3_807
	s_branch .LBB3_726
.LBB3_808:                              ;   in Loop: Header=BB3_5 Depth=1
	s_branch .LBB3_865
.LBB3_809:                              ;   in Loop: Header=BB3_5 Depth=1
                                        ; implicit-def: $vgpr8_vgpr9
	s_cbranch_execz .LBB3_724
; %bb.810:                              ;   in Loop: Header=BB3_5 Depth=1
	v_readfirstlane_b32 s0, v32
	v_cmp_eq_u32_e64 s[0:1], s0, v32
	v_pk_mov_b32 v[4:5], 0, 0
	s_and_saveexec_b64 s[14:15], s[0:1]
	s_cbranch_execz .LBB3_816
; %bb.811:                              ;   in Loop: Header=BB3_5 Depth=1
	global_load_dwordx2 v[10:11], v35, s[2:3] offset:24 glc
	s_waitcnt vmcnt(0)
	buffer_invl2
	buffer_wbinvl1_vol
	global_load_dwordx2 v[4:5], v35, s[2:3] offset:40
	global_load_dwordx2 v[8:9], v35, s[2:3]
	s_waitcnt vmcnt(1)
	v_and_b32_e32 v1, v4, v10
	v_and_b32_e32 v2, v5, v11
	v_mul_lo_u32 v2, v2, 24
	v_mul_hi_u32 v4, v1, 24
	v_mul_lo_u32 v1, v1, 24
	v_add_u32_e32 v2, v4, v2
	s_waitcnt vmcnt(0)
	v_add_co_u32_e32 v4, vcc, v8, v1
	v_addc_co_u32_e32 v5, vcc, v9, v2, vcc
	global_load_dwordx2 v[8:9], v[4:5], off glc
	s_waitcnt vmcnt(0)
	global_atomic_cmpswap_x2 v[4:5], v35, v[8:11], s[2:3] offset:24 glc
	s_waitcnt vmcnt(0)
	buffer_invl2
	buffer_wbinvl1_vol
	v_cmp_ne_u64_e32 vcc, v[4:5], v[10:11]
	s_and_saveexec_b64 s[16:17], vcc
	s_cbranch_execz .LBB3_815
; %bb.812:                              ;   in Loop: Header=BB3_5 Depth=1
	s_mov_b64 s[18:19], 0
.LBB3_813:                              ;   Parent Loop BB3_5 Depth=1
                                        ; =>  This Inner Loop Header: Depth=2
	s_sleep 1
	global_load_dwordx2 v[8:9], v35, s[2:3] offset:40
	global_load_dwordx2 v[14:15], v35, s[2:3]
	v_pk_mov_b32 v[10:11], v[4:5], v[4:5] op_sel:[0,1]
	s_waitcnt vmcnt(1)
	v_and_b32_e32 v2, v8, v10
	s_waitcnt vmcnt(0)
	v_mad_u64_u32 v[4:5], s[20:21], v2, 24, v[14:15]
	v_and_b32_e32 v1, v9, v11
	v_mov_b32_e32 v2, v5
	v_mad_u64_u32 v[8:9], s[20:21], v1, 24, v[2:3]
	v_mov_b32_e32 v5, v8
	global_load_dwordx2 v[8:9], v[4:5], off glc
	s_waitcnt vmcnt(0)
	global_atomic_cmpswap_x2 v[4:5], v35, v[8:11], s[2:3] offset:24 glc
	s_waitcnt vmcnt(0)
	buffer_invl2
	buffer_wbinvl1_vol
	v_cmp_eq_u64_e32 vcc, v[4:5], v[10:11]
	s_or_b64 s[18:19], vcc, s[18:19]
	s_andn2_b64 exec, exec, s[18:19]
	s_cbranch_execnz .LBB3_813
; %bb.814:                              ;   in Loop: Header=BB3_5 Depth=1
	s_or_b64 exec, exec, s[18:19]
.LBB3_815:                              ;   in Loop: Header=BB3_5 Depth=1
	s_or_b64 exec, exec, s[16:17]
.LBB3_816:                              ;   in Loop: Header=BB3_5 Depth=1
	s_or_b64 exec, exec, s[14:15]
	global_load_dwordx2 v[14:15], v35, s[2:3] offset:40
	global_load_dwordx4 v[8:11], v35, s[2:3]
	v_readfirstlane_b32 s14, v4
	v_readfirstlane_b32 s15, v5
	s_mov_b64 s[16:17], exec
	s_waitcnt vmcnt(1)
	v_readfirstlane_b32 s18, v14
	v_readfirstlane_b32 s19, v15
	s_and_b64 s[18:19], s[14:15], s[18:19]
	s_mul_i32 s20, s19, 24
	s_mul_hi_u32 s21, s18, 24
	s_mul_i32 s22, s18, 24
	s_add_i32 s20, s21, s20
	v_mov_b32_e32 v1, s20
	s_waitcnt vmcnt(0)
	v_add_co_u32_e32 v16, vcc, s22, v8
	v_addc_co_u32_e32 v17, vcc, v9, v1, vcc
	s_and_saveexec_b64 s[20:21], s[0:1]
	s_cbranch_execz .LBB3_818
; %bb.817:                              ;   in Loop: Header=BB3_5 Depth=1
	v_pk_mov_b32 v[4:5], s[16:17], s[16:17] op_sel:[0,1]
	global_store_dwordx4 v[16:17], v[4:7], off offset:8
.LBB3_818:                              ;   in Loop: Header=BB3_5 Depth=1
	s_or_b64 exec, exec, s[20:21]
	s_lshl_b64 s[16:17], s[18:19], 12
	v_mov_b32_e32 v1, s17
	v_add_co_u32_e32 v4, vcc, s16, v10
	v_addc_co_u32_e32 v1, vcc, v11, v1, vcc
	v_and_or_b32 v12, v12, s29, 32
	v_mov_b32_e32 v14, v3
	v_mov_b32_e32 v15, v3
	v_readfirstlane_b32 s16, v4
	v_readfirstlane_b32 s17, v1
	s_nop 4
	global_store_dwordx4 v46, v[12:15], s[16:17]
	s_nop 0
	v_pk_mov_b32 v[12:13], s[10:11], s[10:11] op_sel:[0,1]
	v_pk_mov_b32 v[10:11], s[8:9], s[8:9] op_sel:[0,1]
	global_store_dwordx4 v46, v[10:13], s[16:17] offset:16
	global_store_dwordx4 v46, v[10:13], s[16:17] offset:32
	;; [unrolled: 1-line block ×3, first 2 shown]
	s_and_saveexec_b64 s[16:17], s[0:1]
	s_cbranch_execz .LBB3_826
; %bb.819:                              ;   in Loop: Header=BB3_5 Depth=1
	global_load_dwordx2 v[20:21], v35, s[2:3] offset:32 glc
	global_load_dwordx2 v[10:11], v35, s[2:3] offset:40
	v_mov_b32_e32 v18, s14
	v_mov_b32_e32 v19, s15
	s_waitcnt vmcnt(0)
	v_readfirstlane_b32 s18, v10
	v_readfirstlane_b32 s19, v11
	s_and_b64 s[18:19], s[18:19], s[14:15]
	s_mul_i32 s19, s19, 24
	s_mul_hi_u32 s20, s18, 24
	s_mul_i32 s18, s18, 24
	s_add_i32 s19, s20, s19
	v_mov_b32_e32 v2, s19
	v_add_co_u32_e32 v12, vcc, s18, v8
	v_addc_co_u32_e32 v13, vcc, v9, v2, vcc
	global_store_dwordx2 v[12:13], v[20:21], off
	buffer_wbl2
	s_waitcnt vmcnt(0)
	global_atomic_cmpswap_x2 v[10:11], v35, v[18:21], s[2:3] offset:32 glc
	s_waitcnt vmcnt(0)
	v_cmp_ne_u64_e32 vcc, v[10:11], v[20:21]
	s_and_saveexec_b64 s[18:19], vcc
	s_cbranch_execz .LBB3_822
; %bb.820:                              ;   in Loop: Header=BB3_5 Depth=1
	s_mov_b64 s[20:21], 0
.LBB3_821:                              ;   Parent Loop BB3_5 Depth=1
                                        ; =>  This Inner Loop Header: Depth=2
	s_sleep 1
	global_store_dwordx2 v[12:13], v[10:11], off
	v_mov_b32_e32 v8, s14
	v_mov_b32_e32 v9, s15
	buffer_wbl2
	s_waitcnt vmcnt(0)
	global_atomic_cmpswap_x2 v[8:9], v35, v[8:11], s[2:3] offset:32 glc
	s_waitcnt vmcnt(0)
	v_cmp_eq_u64_e32 vcc, v[8:9], v[10:11]
	s_or_b64 s[20:21], vcc, s[20:21]
	v_pk_mov_b32 v[10:11], v[8:9], v[8:9] op_sel:[0,1]
	s_andn2_b64 exec, exec, s[20:21]
	s_cbranch_execnz .LBB3_821
.LBB3_822:                              ;   in Loop: Header=BB3_5 Depth=1
	s_or_b64 exec, exec, s[18:19]
	global_load_dwordx2 v[8:9], v35, s[2:3] offset:16
	s_mov_b64 s[20:21], exec
	v_mbcnt_lo_u32_b32 v2, s20, 0
	v_mbcnt_hi_u32_b32 v2, s21, v2
	v_cmp_eq_u32_e32 vcc, 0, v2
	s_and_saveexec_b64 s[18:19], vcc
	s_cbranch_execz .LBB3_824
; %bb.823:                              ;   in Loop: Header=BB3_5 Depth=1
	s_bcnt1_i32_b64 s20, s[20:21]
	v_mov_b32_e32 v2, s20
	buffer_wbl2
	s_waitcnt vmcnt(0)
	global_atomic_add_x2 v[8:9], v[2:3], off offset:8
.LBB3_824:                              ;   in Loop: Header=BB3_5 Depth=1
	s_or_b64 exec, exec, s[18:19]
	s_waitcnt vmcnt(0)
	global_load_dwordx2 v[10:11], v[8:9], off offset:16
	s_waitcnt vmcnt(0)
	v_cmp_eq_u64_e32 vcc, 0, v[10:11]
	s_cbranch_vccnz .LBB3_826
; %bb.825:                              ;   in Loop: Header=BB3_5 Depth=1
	global_load_dword v34, v[8:9], off offset:24
	s_waitcnt vmcnt(0)
	v_and_b32_e32 v2, 0xffffff, v34
	v_readfirstlane_b32 m0, v2
	buffer_wbl2
	global_store_dwordx2 v[10:11], v[34:35], off
	s_sendmsg sendmsg(MSG_INTERRUPT)
.LBB3_826:                              ;   in Loop: Header=BB3_5 Depth=1
	s_or_b64 exec, exec, s[16:17]
	v_add_co_u32_e32 v4, vcc, v4, v46
	v_addc_co_u32_e32 v5, vcc, 0, v1, vcc
	s_branch .LBB3_830
.LBB3_827:                              ;   in Loop: Header=BB3_830 Depth=2
	s_or_b64 exec, exec, s[16:17]
	v_readfirstlane_b32 s16, v1
	s_cmp_eq_u32 s16, 0
	s_cbranch_scc1 .LBB3_829
; %bb.828:                              ;   in Loop: Header=BB3_830 Depth=2
	s_sleep 1
	s_cbranch_execnz .LBB3_830
	s_branch .LBB3_832
.LBB3_829:                              ;   in Loop: Header=BB3_5 Depth=1
	s_branch .LBB3_832
.LBB3_830:                              ;   Parent Loop BB3_5 Depth=1
                                        ; =>  This Inner Loop Header: Depth=2
	v_mov_b32_e32 v1, 1
	s_and_saveexec_b64 s[16:17], s[0:1]
	s_cbranch_execz .LBB3_827
; %bb.831:                              ;   in Loop: Header=BB3_830 Depth=2
	global_load_dword v1, v[16:17], off offset:20 glc
	s_waitcnt vmcnt(0)
	buffer_invl2
	buffer_wbinvl1_vol
	v_and_b32_e32 v1, 1, v1
	s_branch .LBB3_827
.LBB3_832:                              ;   in Loop: Header=BB3_5 Depth=1
	global_load_dwordx2 v[8:9], v[4:5], off
	s_and_saveexec_b64 s[16:17], s[0:1]
	s_cbranch_execz .LBB3_836
; %bb.833:                              ;   in Loop: Header=BB3_5 Depth=1
	global_load_dwordx2 v[4:5], v35, s[2:3] offset:40
	global_load_dwordx2 v[14:15], v35, s[2:3] offset:24 glc
	global_load_dwordx2 v[16:17], v35, s[2:3]
	v_mov_b32_e32 v1, s15
	s_waitcnt vmcnt(2)
	v_add_co_u32_e32 v2, vcc, 1, v4
	v_addc_co_u32_e32 v13, vcc, 0, v5, vcc
	v_add_co_u32_e32 v10, vcc, s14, v2
	v_addc_co_u32_e32 v11, vcc, v13, v1, vcc
	v_cmp_eq_u64_e32 vcc, 0, v[10:11]
	v_cndmask_b32_e32 v11, v11, v13, vcc
	v_cndmask_b32_e32 v10, v10, v2, vcc
	v_and_b32_e32 v1, v11, v5
	v_and_b32_e32 v2, v10, v4
	v_mul_lo_u32 v1, v1, 24
	v_mul_hi_u32 v4, v2, 24
	v_mul_lo_u32 v2, v2, 24
	v_add_u32_e32 v1, v4, v1
	s_waitcnt vmcnt(0)
	v_add_co_u32_e32 v4, vcc, v16, v2
	v_addc_co_u32_e32 v5, vcc, v17, v1, vcc
	v_mov_b32_e32 v12, v14
	global_store_dwordx2 v[4:5], v[14:15], off
	v_mov_b32_e32 v13, v15
	buffer_wbl2
	s_waitcnt vmcnt(0)
	global_atomic_cmpswap_x2 v[12:13], v35, v[10:13], s[2:3] offset:24 glc
	s_waitcnt vmcnt(0)
	v_cmp_ne_u64_e32 vcc, v[12:13], v[14:15]
	s_and_b64 exec, exec, vcc
	s_cbranch_execz .LBB3_836
; %bb.834:                              ;   in Loop: Header=BB3_5 Depth=1
	s_mov_b64 s[0:1], 0
.LBB3_835:                              ;   Parent Loop BB3_5 Depth=1
                                        ; =>  This Inner Loop Header: Depth=2
	s_sleep 1
	global_store_dwordx2 v[4:5], v[12:13], off
	buffer_wbl2
	s_waitcnt vmcnt(0)
	global_atomic_cmpswap_x2 v[14:15], v35, v[10:13], s[2:3] offset:24 glc
	s_waitcnt vmcnt(0)
	v_cmp_eq_u64_e32 vcc, v[14:15], v[12:13]
	s_or_b64 s[0:1], vcc, s[0:1]
	v_pk_mov_b32 v[12:13], v[14:15], v[14:15] op_sel:[0,1]
	s_andn2_b64 exec, exec, s[0:1]
	s_cbranch_execnz .LBB3_835
.LBB3_836:                              ;   in Loop: Header=BB3_5 Depth=1
	s_or_b64 exec, exec, s[16:17]
	s_and_b64 vcc, exec, s[12:13]
	s_cbranch_vccnz .LBB3_725
.LBB3_837:                              ;   in Loop: Header=BB3_5 Depth=1
                                        ; implicit-def: $vgpr10_vgpr11
	s_cbranch_execz .LBB3_865
; %bb.838:                              ;   in Loop: Header=BB3_5 Depth=1
	v_readfirstlane_b32 s0, v32
	v_cmp_eq_u32_e64 s[0:1], s0, v32
	v_pk_mov_b32 v[4:5], 0, 0
	s_and_saveexec_b64 s[14:15], s[0:1]
	s_cbranch_execz .LBB3_844
; %bb.839:                              ;   in Loop: Header=BB3_5 Depth=1
	global_load_dwordx2 v[12:13], v35, s[2:3] offset:24 glc
	s_waitcnt vmcnt(0)
	buffer_invl2
	buffer_wbinvl1_vol
	global_load_dwordx2 v[4:5], v35, s[2:3] offset:40
	global_load_dwordx2 v[10:11], v35, s[2:3]
	s_waitcnt vmcnt(1)
	v_and_b32_e32 v1, v4, v12
	v_and_b32_e32 v2, v5, v13
	v_mul_lo_u32 v2, v2, 24
	v_mul_hi_u32 v4, v1, 24
	v_mul_lo_u32 v1, v1, 24
	v_add_u32_e32 v2, v4, v2
	s_waitcnt vmcnt(0)
	v_add_co_u32_e32 v4, vcc, v10, v1
	v_addc_co_u32_e32 v5, vcc, v11, v2, vcc
	global_load_dwordx2 v[10:11], v[4:5], off glc
	s_waitcnt vmcnt(0)
	global_atomic_cmpswap_x2 v[4:5], v35, v[10:13], s[2:3] offset:24 glc
	s_waitcnt vmcnt(0)
	buffer_invl2
	buffer_wbinvl1_vol
	v_cmp_ne_u64_e32 vcc, v[4:5], v[12:13]
	s_and_saveexec_b64 s[16:17], vcc
	s_cbranch_execz .LBB3_843
; %bb.840:                              ;   in Loop: Header=BB3_5 Depth=1
	s_mov_b64 s[18:19], 0
.LBB3_841:                              ;   Parent Loop BB3_5 Depth=1
                                        ; =>  This Inner Loop Header: Depth=2
	s_sleep 1
	global_load_dwordx2 v[10:11], v35, s[2:3] offset:40
	global_load_dwordx2 v[14:15], v35, s[2:3]
	v_pk_mov_b32 v[12:13], v[4:5], v[4:5] op_sel:[0,1]
	s_waitcnt vmcnt(1)
	v_and_b32_e32 v2, v10, v12
	s_waitcnt vmcnt(0)
	v_mad_u64_u32 v[4:5], s[20:21], v2, 24, v[14:15]
	v_and_b32_e32 v1, v11, v13
	v_mov_b32_e32 v2, v5
	v_mad_u64_u32 v[10:11], s[20:21], v1, 24, v[2:3]
	v_mov_b32_e32 v5, v10
	global_load_dwordx2 v[10:11], v[4:5], off glc
	s_waitcnt vmcnt(0)
	global_atomic_cmpswap_x2 v[4:5], v35, v[10:13], s[2:3] offset:24 glc
	s_waitcnt vmcnt(0)
	buffer_invl2
	buffer_wbinvl1_vol
	v_cmp_eq_u64_e32 vcc, v[4:5], v[12:13]
	s_or_b64 s[18:19], vcc, s[18:19]
	s_andn2_b64 exec, exec, s[18:19]
	s_cbranch_execnz .LBB3_841
; %bb.842:                              ;   in Loop: Header=BB3_5 Depth=1
	s_or_b64 exec, exec, s[18:19]
.LBB3_843:                              ;   in Loop: Header=BB3_5 Depth=1
	s_or_b64 exec, exec, s[16:17]
.LBB3_844:                              ;   in Loop: Header=BB3_5 Depth=1
	s_or_b64 exec, exec, s[14:15]
	global_load_dwordx2 v[10:11], v35, s[2:3] offset:40
	global_load_dwordx4 v[12:15], v35, s[2:3]
	v_readfirstlane_b32 s14, v4
	v_readfirstlane_b32 s15, v5
	s_mov_b64 s[16:17], exec
	s_waitcnt vmcnt(1)
	v_readfirstlane_b32 s18, v10
	v_readfirstlane_b32 s19, v11
	s_and_b64 s[18:19], s[14:15], s[18:19]
	s_mul_i32 s20, s19, 24
	s_mul_hi_u32 s21, s18, 24
	s_mul_i32 s22, s18, 24
	s_add_i32 s20, s21, s20
	v_mov_b32_e32 v1, s20
	s_waitcnt vmcnt(0)
	v_add_co_u32_e32 v16, vcc, s22, v12
	v_addc_co_u32_e32 v17, vcc, v13, v1, vcc
	s_and_saveexec_b64 s[20:21], s[0:1]
	s_cbranch_execz .LBB3_846
; %bb.845:                              ;   in Loop: Header=BB3_5 Depth=1
	v_pk_mov_b32 v[4:5], s[16:17], s[16:17] op_sel:[0,1]
	global_store_dwordx4 v[16:17], v[4:7], off offset:8
.LBB3_846:                              ;   in Loop: Header=BB3_5 Depth=1
	s_or_b64 exec, exec, s[20:21]
	s_lshl_b64 s[16:17], s[18:19], 12
	v_mov_b32_e32 v1, s17
	v_add_co_u32_e32 v4, vcc, s16, v14
	v_addc_co_u32_e32 v1, vcc, v15, v1, vcc
	v_and_or_b32 v8, v8, s29, 32
	v_mov_b32_e32 v10, v3
	v_mov_b32_e32 v11, v3
	v_readfirstlane_b32 s16, v4
	v_readfirstlane_b32 s17, v1
	s_nop 4
	global_store_dwordx4 v46, v[8:11], s[16:17]
	s_nop 0
	v_pk_mov_b32 v[8:9], s[8:9], s[8:9] op_sel:[0,1]
	v_pk_mov_b32 v[10:11], s[10:11], s[10:11] op_sel:[0,1]
	global_store_dwordx4 v46, v[8:11], s[16:17] offset:16
	global_store_dwordx4 v46, v[8:11], s[16:17] offset:32
	;; [unrolled: 1-line block ×3, first 2 shown]
	s_and_saveexec_b64 s[16:17], s[0:1]
	s_cbranch_execz .LBB3_854
; %bb.847:                              ;   in Loop: Header=BB3_5 Depth=1
	global_load_dwordx2 v[20:21], v35, s[2:3] offset:32 glc
	global_load_dwordx2 v[8:9], v35, s[2:3] offset:40
	v_mov_b32_e32 v18, s14
	v_mov_b32_e32 v19, s15
	s_waitcnt vmcnt(0)
	v_readfirstlane_b32 s18, v8
	v_readfirstlane_b32 s19, v9
	s_and_b64 s[18:19], s[18:19], s[14:15]
	s_mul_i32 s19, s19, 24
	s_mul_hi_u32 s20, s18, 24
	s_mul_i32 s18, s18, 24
	s_add_i32 s19, s20, s19
	v_mov_b32_e32 v2, s19
	v_add_co_u32_e32 v12, vcc, s18, v12
	v_addc_co_u32_e32 v13, vcc, v13, v2, vcc
	global_store_dwordx2 v[12:13], v[20:21], off
	buffer_wbl2
	s_waitcnt vmcnt(0)
	global_atomic_cmpswap_x2 v[10:11], v35, v[18:21], s[2:3] offset:32 glc
	s_waitcnt vmcnt(0)
	v_cmp_ne_u64_e32 vcc, v[10:11], v[20:21]
	s_and_saveexec_b64 s[18:19], vcc
	s_cbranch_execz .LBB3_850
; %bb.848:                              ;   in Loop: Header=BB3_5 Depth=1
	s_mov_b64 s[20:21], 0
.LBB3_849:                              ;   Parent Loop BB3_5 Depth=1
                                        ; =>  This Inner Loop Header: Depth=2
	s_sleep 1
	global_store_dwordx2 v[12:13], v[10:11], off
	v_mov_b32_e32 v8, s14
	v_mov_b32_e32 v9, s15
	buffer_wbl2
	s_waitcnt vmcnt(0)
	global_atomic_cmpswap_x2 v[8:9], v35, v[8:11], s[2:3] offset:32 glc
	s_waitcnt vmcnt(0)
	v_cmp_eq_u64_e32 vcc, v[8:9], v[10:11]
	s_or_b64 s[20:21], vcc, s[20:21]
	v_pk_mov_b32 v[10:11], v[8:9], v[8:9] op_sel:[0,1]
	s_andn2_b64 exec, exec, s[20:21]
	s_cbranch_execnz .LBB3_849
.LBB3_850:                              ;   in Loop: Header=BB3_5 Depth=1
	s_or_b64 exec, exec, s[18:19]
	global_load_dwordx2 v[8:9], v35, s[2:3] offset:16
	s_mov_b64 s[20:21], exec
	v_mbcnt_lo_u32_b32 v2, s20, 0
	v_mbcnt_hi_u32_b32 v2, s21, v2
	v_cmp_eq_u32_e32 vcc, 0, v2
	s_and_saveexec_b64 s[18:19], vcc
	s_cbranch_execz .LBB3_852
; %bb.851:                              ;   in Loop: Header=BB3_5 Depth=1
	s_bcnt1_i32_b64 s20, s[20:21]
	v_mov_b32_e32 v2, s20
	buffer_wbl2
	s_waitcnt vmcnt(0)
	global_atomic_add_x2 v[8:9], v[2:3], off offset:8
.LBB3_852:                              ;   in Loop: Header=BB3_5 Depth=1
	s_or_b64 exec, exec, s[18:19]
	s_waitcnt vmcnt(0)
	global_load_dwordx2 v[10:11], v[8:9], off offset:16
	s_waitcnt vmcnt(0)
	v_cmp_eq_u64_e32 vcc, 0, v[10:11]
	s_cbranch_vccnz .LBB3_854
; %bb.853:                              ;   in Loop: Header=BB3_5 Depth=1
	global_load_dword v34, v[8:9], off offset:24
	s_waitcnt vmcnt(0)
	v_and_b32_e32 v2, 0xffffff, v34
	v_readfirstlane_b32 m0, v2
	buffer_wbl2
	global_store_dwordx2 v[10:11], v[34:35], off
	s_sendmsg sendmsg(MSG_INTERRUPT)
.LBB3_854:                              ;   in Loop: Header=BB3_5 Depth=1
	s_or_b64 exec, exec, s[16:17]
	v_add_co_u32_e32 v4, vcc, v4, v46
	v_addc_co_u32_e32 v5, vcc, 0, v1, vcc
	s_branch .LBB3_858
.LBB3_855:                              ;   in Loop: Header=BB3_858 Depth=2
	s_or_b64 exec, exec, s[16:17]
	v_readfirstlane_b32 s16, v1
	s_cmp_eq_u32 s16, 0
	s_cbranch_scc1 .LBB3_857
; %bb.856:                              ;   in Loop: Header=BB3_858 Depth=2
	s_sleep 1
	s_cbranch_execnz .LBB3_858
	s_branch .LBB3_860
.LBB3_857:                              ;   in Loop: Header=BB3_5 Depth=1
	s_branch .LBB3_860
.LBB3_858:                              ;   Parent Loop BB3_5 Depth=1
                                        ; =>  This Inner Loop Header: Depth=2
	v_mov_b32_e32 v1, 1
	s_and_saveexec_b64 s[16:17], s[0:1]
	s_cbranch_execz .LBB3_855
; %bb.859:                              ;   in Loop: Header=BB3_858 Depth=2
	global_load_dword v1, v[16:17], off offset:20 glc
	s_waitcnt vmcnt(0)
	buffer_invl2
	buffer_wbinvl1_vol
	v_and_b32_e32 v1, 1, v1
	s_branch .LBB3_855
.LBB3_860:                              ;   in Loop: Header=BB3_5 Depth=1
	global_load_dwordx2 v[10:11], v[4:5], off
	s_and_saveexec_b64 s[16:17], s[0:1]
	s_cbranch_execz .LBB3_864
; %bb.861:                              ;   in Loop: Header=BB3_5 Depth=1
	global_load_dwordx2 v[4:5], v35, s[2:3] offset:40
	global_load_dwordx2 v[8:9], v35, s[2:3] offset:24 glc
	global_load_dwordx2 v[16:17], v35, s[2:3]
	v_mov_b32_e32 v1, s15
	s_waitcnt vmcnt(2)
	v_add_co_u32_e32 v2, vcc, 1, v4
	v_addc_co_u32_e32 v15, vcc, 0, v5, vcc
	v_add_co_u32_e32 v12, vcc, s14, v2
	v_addc_co_u32_e32 v13, vcc, v15, v1, vcc
	v_cmp_eq_u64_e32 vcc, 0, v[12:13]
	v_cndmask_b32_e32 v13, v13, v15, vcc
	v_cndmask_b32_e32 v12, v12, v2, vcc
	v_and_b32_e32 v1, v13, v5
	v_and_b32_e32 v2, v12, v4
	v_mul_lo_u32 v1, v1, 24
	v_mul_hi_u32 v4, v2, 24
	v_mul_lo_u32 v2, v2, 24
	v_add_u32_e32 v1, v4, v1
	s_waitcnt vmcnt(0)
	v_add_co_u32_e32 v4, vcc, v16, v2
	v_addc_co_u32_e32 v5, vcc, v17, v1, vcc
	v_mov_b32_e32 v14, v8
	global_store_dwordx2 v[4:5], v[8:9], off
	v_mov_b32_e32 v15, v9
	buffer_wbl2
	s_waitcnt vmcnt(0)
	global_atomic_cmpswap_x2 v[14:15], v35, v[12:15], s[2:3] offset:24 glc
	s_waitcnt vmcnt(0)
	v_cmp_ne_u64_e32 vcc, v[14:15], v[8:9]
	s_and_b64 exec, exec, vcc
	s_cbranch_execz .LBB3_864
; %bb.862:                              ;   in Loop: Header=BB3_5 Depth=1
	s_mov_b64 s[0:1], 0
.LBB3_863:                              ;   Parent Loop BB3_5 Depth=1
                                        ; =>  This Inner Loop Header: Depth=2
	s_sleep 1
	global_store_dwordx2 v[4:5], v[14:15], off
	buffer_wbl2
	s_waitcnt vmcnt(0)
	global_atomic_cmpswap_x2 v[8:9], v35, v[12:15], s[2:3] offset:24 glc
	s_waitcnt vmcnt(0)
	v_cmp_eq_u64_e32 vcc, v[8:9], v[14:15]
	s_or_b64 s[0:1], vcc, s[0:1]
	v_pk_mov_b32 v[14:15], v[8:9], v[8:9] op_sel:[0,1]
	s_andn2_b64 exec, exec, s[0:1]
	s_cbranch_execnz .LBB3_863
.LBB3_864:                              ;   in Loop: Header=BB3_5 Depth=1
	s_or_b64 exec, exec, s[16:17]
.LBB3_865:                              ;   in Loop: Header=BB3_5 Depth=1
	v_readfirstlane_b32 s0, v32
	v_cmp_eq_u32_e64 s[0:1], s0, v32
	v_pk_mov_b32 v[4:5], 0, 0
	s_and_saveexec_b64 s[14:15], s[0:1]
	s_cbranch_execz .LBB3_871
; %bb.866:                              ;   in Loop: Header=BB3_5 Depth=1
	global_load_dwordx2 v[14:15], v35, s[2:3] offset:24 glc
	s_waitcnt vmcnt(0)
	buffer_invl2
	buffer_wbinvl1_vol
	global_load_dwordx2 v[4:5], v35, s[2:3] offset:40
	global_load_dwordx2 v[8:9], v35, s[2:3]
	s_waitcnt vmcnt(1)
	v_and_b32_e32 v1, v4, v14
	v_and_b32_e32 v2, v5, v15
	v_mul_lo_u32 v2, v2, 24
	v_mul_hi_u32 v4, v1, 24
	v_mul_lo_u32 v1, v1, 24
	v_add_u32_e32 v2, v4, v2
	s_waitcnt vmcnt(0)
	v_add_co_u32_e32 v4, vcc, v8, v1
	v_addc_co_u32_e32 v5, vcc, v9, v2, vcc
	global_load_dwordx2 v[12:13], v[4:5], off glc
	s_waitcnt vmcnt(0)
	global_atomic_cmpswap_x2 v[4:5], v35, v[12:15], s[2:3] offset:24 glc
	s_waitcnt vmcnt(0)
	buffer_invl2
	buffer_wbinvl1_vol
	v_cmp_ne_u64_e32 vcc, v[4:5], v[14:15]
	s_and_saveexec_b64 s[16:17], vcc
	s_cbranch_execz .LBB3_870
; %bb.867:                              ;   in Loop: Header=BB3_5 Depth=1
	s_mov_b64 s[18:19], 0
.LBB3_868:                              ;   Parent Loop BB3_5 Depth=1
                                        ; =>  This Inner Loop Header: Depth=2
	s_sleep 1
	global_load_dwordx2 v[8:9], v35, s[2:3] offset:40
	global_load_dwordx2 v[12:13], v35, s[2:3]
	v_pk_mov_b32 v[14:15], v[4:5], v[4:5] op_sel:[0,1]
	s_waitcnt vmcnt(1)
	v_and_b32_e32 v2, v8, v14
	s_waitcnt vmcnt(0)
	v_mad_u64_u32 v[4:5], s[20:21], v2, 24, v[12:13]
	v_and_b32_e32 v1, v9, v15
	v_mov_b32_e32 v2, v5
	v_mad_u64_u32 v[8:9], s[20:21], v1, 24, v[2:3]
	v_mov_b32_e32 v5, v8
	global_load_dwordx2 v[12:13], v[4:5], off glc
	s_waitcnt vmcnt(0)
	global_atomic_cmpswap_x2 v[4:5], v35, v[12:15], s[2:3] offset:24 glc
	s_waitcnt vmcnt(0)
	buffer_invl2
	buffer_wbinvl1_vol
	v_cmp_eq_u64_e32 vcc, v[4:5], v[14:15]
	s_or_b64 s[18:19], vcc, s[18:19]
	s_andn2_b64 exec, exec, s[18:19]
	s_cbranch_execnz .LBB3_868
; %bb.869:                              ;   in Loop: Header=BB3_5 Depth=1
	s_or_b64 exec, exec, s[18:19]
.LBB3_870:                              ;   in Loop: Header=BB3_5 Depth=1
	s_or_b64 exec, exec, s[16:17]
.LBB3_871:                              ;   in Loop: Header=BB3_5 Depth=1
	s_or_b64 exec, exec, s[14:15]
	global_load_dwordx2 v[8:9], v35, s[2:3] offset:40
	global_load_dwordx4 v[14:17], v35, s[2:3]
	v_readfirstlane_b32 s14, v4
	v_readfirstlane_b32 s15, v5
	s_mov_b64 s[16:17], exec
	s_waitcnt vmcnt(1)
	v_readfirstlane_b32 s18, v8
	v_readfirstlane_b32 s19, v9
	s_and_b64 s[18:19], s[14:15], s[18:19]
	s_mul_i32 s20, s19, 24
	s_mul_hi_u32 s21, s18, 24
	s_mul_i32 s22, s18, 24
	s_add_i32 s20, s21, s20
	v_mov_b32_e32 v1, s20
	s_waitcnt vmcnt(0)
	v_add_co_u32_e32 v18, vcc, s22, v14
	v_addc_co_u32_e32 v19, vcc, v15, v1, vcc
	s_and_saveexec_b64 s[20:21], s[0:1]
	s_cbranch_execz .LBB3_873
; %bb.872:                              ;   in Loop: Header=BB3_5 Depth=1
	v_pk_mov_b32 v[4:5], s[16:17], s[16:17] op_sel:[0,1]
	global_store_dwordx4 v[18:19], v[4:7], off offset:8
.LBB3_873:                              ;   in Loop: Header=BB3_5 Depth=1
	s_or_b64 exec, exec, s[20:21]
	s_lshl_b64 s[16:17], s[18:19], 12
	v_mov_b32_e32 v1, s17
	v_add_co_u32_e32 v4, vcc, s16, v16
	v_addc_co_u32_e32 v1, vcc, v17, v1, vcc
	v_and_or_b32 v10, v10, s29, 32
	v_mov_b32_e32 v12, v30
	v_mov_b32_e32 v13, v31
	v_readfirstlane_b32 s16, v4
	v_readfirstlane_b32 s17, v1
	s_nop 4
	global_store_dwordx4 v46, v[10:13], s[16:17]
	v_pk_mov_b32 v[8:9], s[8:9], s[8:9] op_sel:[0,1]
	v_pk_mov_b32 v[10:11], s[10:11], s[10:11] op_sel:[0,1]
	global_store_dwordx4 v46, v[8:11], s[16:17] offset:16
	global_store_dwordx4 v46, v[8:11], s[16:17] offset:32
	;; [unrolled: 1-line block ×3, first 2 shown]
	s_and_saveexec_b64 s[16:17], s[0:1]
	s_cbranch_execz .LBB3_881
; %bb.874:                              ;   in Loop: Header=BB3_5 Depth=1
	global_load_dwordx2 v[22:23], v35, s[2:3] offset:32 glc
	global_load_dwordx2 v[8:9], v35, s[2:3] offset:40
	v_mov_b32_e32 v20, s14
	v_mov_b32_e32 v21, s15
	s_waitcnt vmcnt(0)
	v_readfirstlane_b32 s18, v8
	v_readfirstlane_b32 s19, v9
	s_and_b64 s[18:19], s[18:19], s[14:15]
	s_mul_i32 s19, s19, 24
	s_mul_hi_u32 s20, s18, 24
	s_mul_i32 s18, s18, 24
	s_add_i32 s19, s20, s19
	v_mov_b32_e32 v2, s19
	v_add_co_u32_e32 v12, vcc, s18, v14
	v_addc_co_u32_e32 v13, vcc, v15, v2, vcc
	global_store_dwordx2 v[12:13], v[22:23], off
	buffer_wbl2
	s_waitcnt vmcnt(0)
	global_atomic_cmpswap_x2 v[10:11], v35, v[20:23], s[2:3] offset:32 glc
	s_waitcnt vmcnt(0)
	v_cmp_ne_u64_e32 vcc, v[10:11], v[22:23]
	s_and_saveexec_b64 s[18:19], vcc
	s_cbranch_execz .LBB3_877
; %bb.875:                              ;   in Loop: Header=BB3_5 Depth=1
	s_mov_b64 s[20:21], 0
.LBB3_876:                              ;   Parent Loop BB3_5 Depth=1
                                        ; =>  This Inner Loop Header: Depth=2
	s_sleep 1
	global_store_dwordx2 v[12:13], v[10:11], off
	v_mov_b32_e32 v8, s14
	v_mov_b32_e32 v9, s15
	buffer_wbl2
	s_waitcnt vmcnt(0)
	global_atomic_cmpswap_x2 v[8:9], v35, v[8:11], s[2:3] offset:32 glc
	s_waitcnt vmcnt(0)
	v_cmp_eq_u64_e32 vcc, v[8:9], v[10:11]
	s_or_b64 s[20:21], vcc, s[20:21]
	v_pk_mov_b32 v[10:11], v[8:9], v[8:9] op_sel:[0,1]
	s_andn2_b64 exec, exec, s[20:21]
	s_cbranch_execnz .LBB3_876
.LBB3_877:                              ;   in Loop: Header=BB3_5 Depth=1
	s_or_b64 exec, exec, s[18:19]
	global_load_dwordx2 v[8:9], v35, s[2:3] offset:16
	s_mov_b64 s[20:21], exec
	v_mbcnt_lo_u32_b32 v2, s20, 0
	v_mbcnt_hi_u32_b32 v2, s21, v2
	v_cmp_eq_u32_e32 vcc, 0, v2
	s_and_saveexec_b64 s[18:19], vcc
	s_cbranch_execz .LBB3_879
; %bb.878:                              ;   in Loop: Header=BB3_5 Depth=1
	s_bcnt1_i32_b64 s20, s[20:21]
	v_mov_b32_e32 v2, s20
	buffer_wbl2
	s_waitcnt vmcnt(0)
	global_atomic_add_x2 v[8:9], v[2:3], off offset:8
.LBB3_879:                              ;   in Loop: Header=BB3_5 Depth=1
	s_or_b64 exec, exec, s[18:19]
	s_waitcnt vmcnt(0)
	global_load_dwordx2 v[10:11], v[8:9], off offset:16
	s_waitcnt vmcnt(0)
	v_cmp_eq_u64_e32 vcc, 0, v[10:11]
	s_cbranch_vccnz .LBB3_881
; %bb.880:                              ;   in Loop: Header=BB3_5 Depth=1
	global_load_dword v34, v[8:9], off offset:24
	s_waitcnt vmcnt(0)
	v_and_b32_e32 v2, 0xffffff, v34
	v_readfirstlane_b32 m0, v2
	buffer_wbl2
	global_store_dwordx2 v[10:11], v[34:35], off
	s_sendmsg sendmsg(MSG_INTERRUPT)
.LBB3_881:                              ;   in Loop: Header=BB3_5 Depth=1
	s_or_b64 exec, exec, s[16:17]
	v_add_co_u32_e32 v4, vcc, v4, v46
	v_addc_co_u32_e32 v5, vcc, 0, v1, vcc
	s_branch .LBB3_885
.LBB3_882:                              ;   in Loop: Header=BB3_885 Depth=2
	s_or_b64 exec, exec, s[16:17]
	v_readfirstlane_b32 s16, v1
	s_cmp_eq_u32 s16, 0
	s_cbranch_scc1 .LBB3_884
; %bb.883:                              ;   in Loop: Header=BB3_885 Depth=2
	s_sleep 1
	s_cbranch_execnz .LBB3_885
	s_branch .LBB3_887
.LBB3_884:                              ;   in Loop: Header=BB3_5 Depth=1
	s_branch .LBB3_887
.LBB3_885:                              ;   Parent Loop BB3_5 Depth=1
                                        ; =>  This Inner Loop Header: Depth=2
	v_mov_b32_e32 v1, 1
	s_and_saveexec_b64 s[16:17], s[0:1]
	s_cbranch_execz .LBB3_882
; %bb.886:                              ;   in Loop: Header=BB3_885 Depth=2
	global_load_dword v1, v[18:19], off offset:20 glc
	s_waitcnt vmcnt(0)
	buffer_invl2
	buffer_wbinvl1_vol
	v_and_b32_e32 v1, 1, v1
	s_branch .LBB3_882
.LBB3_887:                              ;   in Loop: Header=BB3_5 Depth=1
	global_load_dwordx2 v[8:9], v[4:5], off
	s_and_saveexec_b64 s[16:17], s[0:1]
	s_cbranch_execz .LBB3_891
; %bb.888:                              ;   in Loop: Header=BB3_5 Depth=1
	global_load_dwordx2 v[4:5], v35, s[2:3] offset:40
	global_load_dwordx2 v[14:15], v35, s[2:3] offset:24 glc
	global_load_dwordx2 v[16:17], v35, s[2:3]
	v_mov_b32_e32 v1, s15
	s_waitcnt vmcnt(2)
	v_add_co_u32_e32 v2, vcc, 1, v4
	v_addc_co_u32_e32 v13, vcc, 0, v5, vcc
	v_add_co_u32_e32 v10, vcc, s14, v2
	v_addc_co_u32_e32 v11, vcc, v13, v1, vcc
	v_cmp_eq_u64_e32 vcc, 0, v[10:11]
	v_cndmask_b32_e32 v11, v11, v13, vcc
	v_cndmask_b32_e32 v10, v10, v2, vcc
	v_and_b32_e32 v1, v11, v5
	v_and_b32_e32 v2, v10, v4
	v_mul_lo_u32 v1, v1, 24
	v_mul_hi_u32 v4, v2, 24
	v_mul_lo_u32 v2, v2, 24
	v_add_u32_e32 v1, v4, v1
	s_waitcnt vmcnt(0)
	v_add_co_u32_e32 v4, vcc, v16, v2
	v_addc_co_u32_e32 v5, vcc, v17, v1, vcc
	v_mov_b32_e32 v12, v14
	global_store_dwordx2 v[4:5], v[14:15], off
	v_mov_b32_e32 v13, v15
	buffer_wbl2
	s_waitcnt vmcnt(0)
	global_atomic_cmpswap_x2 v[12:13], v35, v[10:13], s[2:3] offset:24 glc
	s_waitcnt vmcnt(0)
	v_cmp_ne_u64_e32 vcc, v[12:13], v[14:15]
	s_and_b64 exec, exec, vcc
	s_cbranch_execz .LBB3_891
; %bb.889:                              ;   in Loop: Header=BB3_5 Depth=1
	s_mov_b64 s[0:1], 0
.LBB3_890:                              ;   Parent Loop BB3_5 Depth=1
                                        ; =>  This Inner Loop Header: Depth=2
	s_sleep 1
	global_store_dwordx2 v[4:5], v[12:13], off
	buffer_wbl2
	s_waitcnt vmcnt(0)
	global_atomic_cmpswap_x2 v[14:15], v35, v[10:13], s[2:3] offset:24 glc
	s_waitcnt vmcnt(0)
	v_cmp_eq_u64_e32 vcc, v[14:15], v[12:13]
	s_or_b64 s[0:1], vcc, s[0:1]
	v_pk_mov_b32 v[12:13], v[14:15], v[14:15] op_sel:[0,1]
	s_andn2_b64 exec, exec, s[0:1]
	s_cbranch_execnz .LBB3_890
.LBB3_891:                              ;   in Loop: Header=BB3_5 Depth=1
	s_or_b64 exec, exec, s[16:17]
	v_readfirstlane_b32 s0, v32
	v_cmp_eq_u32_e64 s[0:1], s0, v32
	v_pk_mov_b32 v[4:5], 0, 0
	s_and_saveexec_b64 s[14:15], s[0:1]
	s_cbranch_execz .LBB3_897
; %bb.892:                              ;   in Loop: Header=BB3_5 Depth=1
	global_load_dwordx2 v[12:13], v35, s[2:3] offset:24 glc
	s_waitcnt vmcnt(0)
	buffer_invl2
	buffer_wbinvl1_vol
	global_load_dwordx2 v[4:5], v35, s[2:3] offset:40
	global_load_dwordx2 v[10:11], v35, s[2:3]
	s_waitcnt vmcnt(1)
	v_and_b32_e32 v1, v4, v12
	v_and_b32_e32 v2, v5, v13
	v_mul_lo_u32 v2, v2, 24
	v_mul_hi_u32 v4, v1, 24
	v_mul_lo_u32 v1, v1, 24
	v_add_u32_e32 v2, v4, v2
	s_waitcnt vmcnt(0)
	v_add_co_u32_e32 v4, vcc, v10, v1
	v_addc_co_u32_e32 v5, vcc, v11, v2, vcc
	global_load_dwordx2 v[10:11], v[4:5], off glc
	s_waitcnt vmcnt(0)
	global_atomic_cmpswap_x2 v[4:5], v35, v[10:13], s[2:3] offset:24 glc
	s_waitcnt vmcnt(0)
	buffer_invl2
	buffer_wbinvl1_vol
	v_cmp_ne_u64_e32 vcc, v[4:5], v[12:13]
	s_and_saveexec_b64 s[16:17], vcc
	s_cbranch_execz .LBB3_896
; %bb.893:                              ;   in Loop: Header=BB3_5 Depth=1
	s_mov_b64 s[18:19], 0
.LBB3_894:                              ;   Parent Loop BB3_5 Depth=1
                                        ; =>  This Inner Loop Header: Depth=2
	s_sleep 1
	global_load_dwordx2 v[10:11], v35, s[2:3] offset:40
	global_load_dwordx2 v[14:15], v35, s[2:3]
	v_pk_mov_b32 v[12:13], v[4:5], v[4:5] op_sel:[0,1]
	s_waitcnt vmcnt(1)
	v_and_b32_e32 v2, v10, v12
	s_waitcnt vmcnt(0)
	v_mad_u64_u32 v[4:5], s[20:21], v2, 24, v[14:15]
	v_and_b32_e32 v1, v11, v13
	v_mov_b32_e32 v2, v5
	v_mad_u64_u32 v[10:11], s[20:21], v1, 24, v[2:3]
	v_mov_b32_e32 v5, v10
	global_load_dwordx2 v[10:11], v[4:5], off glc
	s_waitcnt vmcnt(0)
	global_atomic_cmpswap_x2 v[4:5], v35, v[10:13], s[2:3] offset:24 glc
	s_waitcnt vmcnt(0)
	buffer_invl2
	buffer_wbinvl1_vol
	v_cmp_eq_u64_e32 vcc, v[4:5], v[12:13]
	s_or_b64 s[18:19], vcc, s[18:19]
	s_andn2_b64 exec, exec, s[18:19]
	s_cbranch_execnz .LBB3_894
; %bb.895:                              ;   in Loop: Header=BB3_5 Depth=1
	s_or_b64 exec, exec, s[18:19]
.LBB3_896:                              ;   in Loop: Header=BB3_5 Depth=1
	s_or_b64 exec, exec, s[16:17]
.LBB3_897:                              ;   in Loop: Header=BB3_5 Depth=1
	s_or_b64 exec, exec, s[14:15]
	global_load_dwordx2 v[10:11], v35, s[2:3] offset:40
	global_load_dwordx4 v[12:15], v35, s[2:3]
	v_readfirstlane_b32 s14, v4
	v_readfirstlane_b32 s15, v5
	s_mov_b64 s[16:17], exec
	s_waitcnt vmcnt(1)
	v_readfirstlane_b32 s18, v10
	v_readfirstlane_b32 s19, v11
	s_and_b64 s[18:19], s[14:15], s[18:19]
	s_mul_i32 s20, s19, 24
	s_mul_hi_u32 s21, s18, 24
	s_mul_i32 s22, s18, 24
	s_add_i32 s20, s21, s20
	v_mov_b32_e32 v1, s20
	s_waitcnt vmcnt(0)
	v_add_co_u32_e32 v16, vcc, s22, v12
	v_addc_co_u32_e32 v17, vcc, v13, v1, vcc
	s_and_saveexec_b64 s[20:21], s[0:1]
	s_cbranch_execz .LBB3_899
; %bb.898:                              ;   in Loop: Header=BB3_5 Depth=1
	v_pk_mov_b32 v[4:5], s[16:17], s[16:17] op_sel:[0,1]
	global_store_dwordx4 v[16:17], v[4:7], off offset:8
.LBB3_899:                              ;   in Loop: Header=BB3_5 Depth=1
	s_or_b64 exec, exec, s[20:21]
	s_lshl_b64 s[16:17], s[18:19], 12
	v_mov_b32_e32 v1, s17
	v_add_co_u32_e32 v4, vcc, s16, v14
	v_addc_co_u32_e32 v1, vcc, v15, v1, vcc
	s_mul_i32 s16, s31, 0x64
	v_and_or_b32 v8, v8, s30, 34
	v_mov_b32_e32 v10, s16
	v_mov_b32_e32 v11, v3
	v_readfirstlane_b32 s16, v4
	v_readfirstlane_b32 s17, v1
	s_nop 4
	global_store_dwordx4 v46, v[8:11], s[16:17]
	s_nop 0
	v_pk_mov_b32 v[8:9], s[8:9], s[8:9] op_sel:[0,1]
	v_pk_mov_b32 v[10:11], s[10:11], s[10:11] op_sel:[0,1]
	global_store_dwordx4 v46, v[8:11], s[16:17] offset:16
	global_store_dwordx4 v46, v[8:11], s[16:17] offset:32
	;; [unrolled: 1-line block ×3, first 2 shown]
	s_and_saveexec_b64 s[16:17], s[0:1]
	s_cbranch_execz .LBB3_907
; %bb.900:                              ;   in Loop: Header=BB3_5 Depth=1
	global_load_dwordx2 v[20:21], v35, s[2:3] offset:32 glc
	global_load_dwordx2 v[8:9], v35, s[2:3] offset:40
	v_mov_b32_e32 v18, s14
	v_mov_b32_e32 v19, s15
	s_waitcnt vmcnt(0)
	v_readfirstlane_b32 s18, v8
	v_readfirstlane_b32 s19, v9
	s_and_b64 s[18:19], s[18:19], s[14:15]
	s_mul_i32 s19, s19, 24
	s_mul_hi_u32 s20, s18, 24
	s_mul_i32 s18, s18, 24
	s_add_i32 s19, s20, s19
	v_mov_b32_e32 v2, s19
	v_add_co_u32_e32 v12, vcc, s18, v12
	v_addc_co_u32_e32 v13, vcc, v13, v2, vcc
	global_store_dwordx2 v[12:13], v[20:21], off
	buffer_wbl2
	s_waitcnt vmcnt(0)
	global_atomic_cmpswap_x2 v[10:11], v35, v[18:21], s[2:3] offset:32 glc
	s_waitcnt vmcnt(0)
	v_cmp_ne_u64_e32 vcc, v[10:11], v[20:21]
	s_and_saveexec_b64 s[18:19], vcc
	s_cbranch_execz .LBB3_903
; %bb.901:                              ;   in Loop: Header=BB3_5 Depth=1
	s_mov_b64 s[20:21], 0
.LBB3_902:                              ;   Parent Loop BB3_5 Depth=1
                                        ; =>  This Inner Loop Header: Depth=2
	s_sleep 1
	global_store_dwordx2 v[12:13], v[10:11], off
	v_mov_b32_e32 v8, s14
	v_mov_b32_e32 v9, s15
	buffer_wbl2
	s_waitcnt vmcnt(0)
	global_atomic_cmpswap_x2 v[8:9], v35, v[8:11], s[2:3] offset:32 glc
	s_waitcnt vmcnt(0)
	v_cmp_eq_u64_e32 vcc, v[8:9], v[10:11]
	s_or_b64 s[20:21], vcc, s[20:21]
	v_pk_mov_b32 v[10:11], v[8:9], v[8:9] op_sel:[0,1]
	s_andn2_b64 exec, exec, s[20:21]
	s_cbranch_execnz .LBB3_902
.LBB3_903:                              ;   in Loop: Header=BB3_5 Depth=1
	s_or_b64 exec, exec, s[18:19]
	global_load_dwordx2 v[8:9], v35, s[2:3] offset:16
	s_mov_b64 s[20:21], exec
	v_mbcnt_lo_u32_b32 v2, s20, 0
	v_mbcnt_hi_u32_b32 v2, s21, v2
	v_cmp_eq_u32_e32 vcc, 0, v2
	s_and_saveexec_b64 s[18:19], vcc
	s_cbranch_execz .LBB3_905
; %bb.904:                              ;   in Loop: Header=BB3_5 Depth=1
	s_bcnt1_i32_b64 s20, s[20:21]
	v_mov_b32_e32 v2, s20
	buffer_wbl2
	s_waitcnt vmcnt(0)
	global_atomic_add_x2 v[8:9], v[2:3], off offset:8
.LBB3_905:                              ;   in Loop: Header=BB3_5 Depth=1
	s_or_b64 exec, exec, s[18:19]
	s_waitcnt vmcnt(0)
	global_load_dwordx2 v[10:11], v[8:9], off offset:16
	s_waitcnt vmcnt(0)
	v_cmp_eq_u64_e32 vcc, 0, v[10:11]
	s_cbranch_vccnz .LBB3_907
; %bb.906:                              ;   in Loop: Header=BB3_5 Depth=1
	global_load_dword v34, v[8:9], off offset:24
	s_waitcnt vmcnt(0)
	v_and_b32_e32 v2, 0xffffff, v34
	v_readfirstlane_b32 m0, v2
	buffer_wbl2
	global_store_dwordx2 v[10:11], v[34:35], off
	s_sendmsg sendmsg(MSG_INTERRUPT)
.LBB3_907:                              ;   in Loop: Header=BB3_5 Depth=1
	s_or_b64 exec, exec, s[16:17]
	v_add_co_u32_e32 v4, vcc, v4, v46
	v_addc_co_u32_e32 v5, vcc, 0, v1, vcc
	s_branch .LBB3_911
.LBB3_908:                              ;   in Loop: Header=BB3_911 Depth=2
	s_or_b64 exec, exec, s[16:17]
	v_readfirstlane_b32 s16, v1
	s_cmp_eq_u32 s16, 0
	s_cbranch_scc1 .LBB3_910
; %bb.909:                              ;   in Loop: Header=BB3_911 Depth=2
	s_sleep 1
	s_cbranch_execnz .LBB3_911
	s_branch .LBB3_913
.LBB3_910:                              ;   in Loop: Header=BB3_5 Depth=1
	s_branch .LBB3_913
.LBB3_911:                              ;   Parent Loop BB3_5 Depth=1
                                        ; =>  This Inner Loop Header: Depth=2
	v_mov_b32_e32 v1, 1
	s_and_saveexec_b64 s[16:17], s[0:1]
	s_cbranch_execz .LBB3_908
; %bb.912:                              ;   in Loop: Header=BB3_911 Depth=2
	global_load_dword v1, v[16:17], off offset:20 glc
	s_waitcnt vmcnt(0)
	buffer_invl2
	buffer_wbinvl1_vol
	v_and_b32_e32 v1, 1, v1
	s_branch .LBB3_908
.LBB3_913:                              ;   in Loop: Header=BB3_5 Depth=1
	global_load_dwordx2 v[40:41], v[4:5], off
	s_and_saveexec_b64 s[16:17], s[0:1]
	s_cbranch_execz .LBB3_917
; %bb.914:                              ;   in Loop: Header=BB3_5 Depth=1
	global_load_dwordx2 v[4:5], v35, s[2:3] offset:40
	global_load_dwordx2 v[12:13], v35, s[2:3] offset:24 glc
	global_load_dwordx2 v[14:15], v35, s[2:3]
	v_mov_b32_e32 v1, s15
	s_waitcnt vmcnt(2)
	v_add_co_u32_e32 v2, vcc, 1, v4
	v_addc_co_u32_e32 v11, vcc, 0, v5, vcc
	v_add_co_u32_e32 v8, vcc, s14, v2
	v_addc_co_u32_e32 v9, vcc, v11, v1, vcc
	v_cmp_eq_u64_e32 vcc, 0, v[8:9]
	v_cndmask_b32_e32 v9, v9, v11, vcc
	v_cndmask_b32_e32 v8, v8, v2, vcc
	v_and_b32_e32 v1, v9, v5
	v_and_b32_e32 v2, v8, v4
	v_mul_lo_u32 v1, v1, 24
	v_mul_hi_u32 v4, v2, 24
	v_mul_lo_u32 v2, v2, 24
	v_add_u32_e32 v1, v4, v1
	s_waitcnt vmcnt(0)
	v_add_co_u32_e32 v4, vcc, v14, v2
	v_addc_co_u32_e32 v5, vcc, v15, v1, vcc
	v_mov_b32_e32 v10, v12
	global_store_dwordx2 v[4:5], v[12:13], off
	v_mov_b32_e32 v11, v13
	buffer_wbl2
	s_waitcnt vmcnt(0)
	global_atomic_cmpswap_x2 v[10:11], v35, v[8:11], s[2:3] offset:24 glc
	s_waitcnt vmcnt(0)
	v_cmp_ne_u64_e32 vcc, v[10:11], v[12:13]
	s_and_b64 exec, exec, vcc
	s_cbranch_execz .LBB3_917
; %bb.915:                              ;   in Loop: Header=BB3_5 Depth=1
	s_mov_b64 s[0:1], 0
.LBB3_916:                              ;   Parent Loop BB3_5 Depth=1
                                        ; =>  This Inner Loop Header: Depth=2
	s_sleep 1
	global_store_dwordx2 v[4:5], v[10:11], off
	buffer_wbl2
	s_waitcnt vmcnt(0)
	global_atomic_cmpswap_x2 v[12:13], v35, v[8:11], s[2:3] offset:24 glc
	s_waitcnt vmcnt(0)
	v_cmp_eq_u64_e32 vcc, v[12:13], v[10:11]
	s_or_b64 s[0:1], vcc, s[0:1]
	v_pk_mov_b32 v[10:11], v[12:13], v[12:13] op_sel:[0,1]
	s_andn2_b64 exec, exec, s[0:1]
	s_cbranch_execnz .LBB3_916
.LBB3_917:                              ;   in Loop: Header=BB3_5 Depth=1
	s_or_b64 exec, exec, s[16:17]
	v_readfirstlane_b32 s0, v32
	v_cmp_eq_u32_e64 s[0:1], s0, v32
	v_pk_mov_b32 v[4:5], 0, 0
	s_and_saveexec_b64 s[14:15], s[0:1]
	s_cbranch_execz .LBB3_923
; %bb.918:                              ;   in Loop: Header=BB3_5 Depth=1
	global_load_dwordx2 v[10:11], v35, s[2:3] offset:24 glc
	s_waitcnt vmcnt(0)
	buffer_invl2
	buffer_wbinvl1_vol
	global_load_dwordx2 v[4:5], v35, s[2:3] offset:40
	global_load_dwordx2 v[8:9], v35, s[2:3]
	s_waitcnt vmcnt(1)
	v_and_b32_e32 v1, v4, v10
	v_and_b32_e32 v2, v5, v11
	v_mul_lo_u32 v2, v2, 24
	v_mul_hi_u32 v4, v1, 24
	v_mul_lo_u32 v1, v1, 24
	v_add_u32_e32 v2, v4, v2
	s_waitcnt vmcnt(0)
	v_add_co_u32_e32 v4, vcc, v8, v1
	v_addc_co_u32_e32 v5, vcc, v9, v2, vcc
	global_load_dwordx2 v[8:9], v[4:5], off glc
	s_waitcnt vmcnt(0)
	global_atomic_cmpswap_x2 v[4:5], v35, v[8:11], s[2:3] offset:24 glc
	s_waitcnt vmcnt(0)
	buffer_invl2
	buffer_wbinvl1_vol
	v_cmp_ne_u64_e32 vcc, v[4:5], v[10:11]
	s_and_saveexec_b64 s[16:17], vcc
	s_cbranch_execz .LBB3_922
; %bb.919:                              ;   in Loop: Header=BB3_5 Depth=1
	s_mov_b64 s[18:19], 0
.LBB3_920:                              ;   Parent Loop BB3_5 Depth=1
                                        ; =>  This Inner Loop Header: Depth=2
	s_sleep 1
	global_load_dwordx2 v[8:9], v35, s[2:3] offset:40
	global_load_dwordx2 v[12:13], v35, s[2:3]
	v_pk_mov_b32 v[10:11], v[4:5], v[4:5] op_sel:[0,1]
	s_waitcnt vmcnt(1)
	v_and_b32_e32 v2, v8, v10
	s_waitcnt vmcnt(0)
	v_mad_u64_u32 v[4:5], s[20:21], v2, 24, v[12:13]
	v_and_b32_e32 v1, v9, v11
	v_mov_b32_e32 v2, v5
	v_mad_u64_u32 v[8:9], s[20:21], v1, 24, v[2:3]
	v_mov_b32_e32 v5, v8
	global_load_dwordx2 v[8:9], v[4:5], off glc
	s_waitcnt vmcnt(0)
	global_atomic_cmpswap_x2 v[4:5], v35, v[8:11], s[2:3] offset:24 glc
	s_waitcnt vmcnt(0)
	buffer_invl2
	buffer_wbinvl1_vol
	v_cmp_eq_u64_e32 vcc, v[4:5], v[10:11]
	s_or_b64 s[18:19], vcc, s[18:19]
	s_andn2_b64 exec, exec, s[18:19]
	s_cbranch_execnz .LBB3_920
; %bb.921:                              ;   in Loop: Header=BB3_5 Depth=1
	s_or_b64 exec, exec, s[18:19]
.LBB3_922:                              ;   in Loop: Header=BB3_5 Depth=1
	s_or_b64 exec, exec, s[16:17]
.LBB3_923:                              ;   in Loop: Header=BB3_5 Depth=1
	s_or_b64 exec, exec, s[14:15]
	global_load_dwordx2 v[12:13], v35, s[2:3] offset:40
	global_load_dwordx4 v[8:11], v35, s[2:3]
	v_readfirstlane_b32 s14, v4
	v_readfirstlane_b32 s15, v5
	s_mov_b64 s[16:17], exec
	s_waitcnt vmcnt(1)
	v_readfirstlane_b32 s18, v12
	v_readfirstlane_b32 s19, v13
	s_and_b64 s[18:19], s[14:15], s[18:19]
	s_mul_i32 s20, s19, 24
	s_mul_hi_u32 s21, s18, 24
	s_mul_i32 s22, s18, 24
	s_add_i32 s20, s21, s20
	v_mov_b32_e32 v1, s20
	s_waitcnt vmcnt(0)
	v_add_co_u32_e32 v12, vcc, s22, v8
	v_addc_co_u32_e32 v13, vcc, v9, v1, vcc
	s_and_saveexec_b64 s[20:21], s[0:1]
	s_cbranch_execz .LBB3_925
; %bb.924:                              ;   in Loop: Header=BB3_5 Depth=1
	v_pk_mov_b32 v[4:5], s[16:17], s[16:17] op_sel:[0,1]
	global_store_dwordx4 v[12:13], v[4:7], off offset:8
.LBB3_925:                              ;   in Loop: Header=BB3_5 Depth=1
	s_or_b64 exec, exec, s[20:21]
	s_lshl_b64 s[16:17], s[18:19], 12
	v_mov_b32_e32 v1, s17
	v_add_co_u32_e32 v4, vcc, s16, v10
	v_addc_co_u32_e32 v5, vcc, v11, v1, vcc
	v_pk_mov_b32 v[16:17], s[10:11], s[10:11] op_sel:[0,1]
	v_mov_b32_e32 v1, v3
	v_mov_b32_e32 v2, v3
	v_readfirstlane_b32 s16, v4
	v_readfirstlane_b32 s17, v5
	v_pk_mov_b32 v[14:15], s[8:9], s[8:9] op_sel:[0,1]
	s_nop 3
	global_store_dwordx4 v46, v[0:3], s[16:17]
	global_store_dwordx4 v46, v[14:17], s[16:17] offset:16
	global_store_dwordx4 v46, v[14:17], s[16:17] offset:32
	;; [unrolled: 1-line block ×3, first 2 shown]
	s_and_saveexec_b64 s[16:17], s[0:1]
	s_cbranch_execz .LBB3_933
; %bb.926:                              ;   in Loop: Header=BB3_5 Depth=1
	global_load_dwordx2 v[18:19], v35, s[2:3] offset:32 glc
	global_load_dwordx2 v[10:11], v35, s[2:3] offset:40
	v_mov_b32_e32 v16, s14
	v_mov_b32_e32 v17, s15
	s_waitcnt vmcnt(0)
	v_readfirstlane_b32 s18, v10
	v_readfirstlane_b32 s19, v11
	s_and_b64 s[18:19], s[18:19], s[14:15]
	s_mul_i32 s19, s19, 24
	s_mul_hi_u32 s20, s18, 24
	s_mul_i32 s18, s18, 24
	s_add_i32 s19, s20, s19
	v_mov_b32_e32 v1, s19
	v_add_co_u32_e32 v14, vcc, s18, v8
	v_addc_co_u32_e32 v15, vcc, v9, v1, vcc
	global_store_dwordx2 v[14:15], v[18:19], off
	buffer_wbl2
	s_waitcnt vmcnt(0)
	global_atomic_cmpswap_x2 v[10:11], v35, v[16:19], s[2:3] offset:32 glc
	s_waitcnt vmcnt(0)
	v_cmp_ne_u64_e32 vcc, v[10:11], v[18:19]
	s_and_saveexec_b64 s[18:19], vcc
	s_cbranch_execz .LBB3_929
; %bb.927:                              ;   in Loop: Header=BB3_5 Depth=1
	s_mov_b64 s[20:21], 0
.LBB3_928:                              ;   Parent Loop BB3_5 Depth=1
                                        ; =>  This Inner Loop Header: Depth=2
	s_sleep 1
	global_store_dwordx2 v[14:15], v[10:11], off
	v_mov_b32_e32 v8, s14
	v_mov_b32_e32 v9, s15
	buffer_wbl2
	s_waitcnt vmcnt(0)
	global_atomic_cmpswap_x2 v[8:9], v35, v[8:11], s[2:3] offset:32 glc
	s_waitcnt vmcnt(0)
	v_cmp_eq_u64_e32 vcc, v[8:9], v[10:11]
	s_or_b64 s[20:21], vcc, s[20:21]
	v_pk_mov_b32 v[10:11], v[8:9], v[8:9] op_sel:[0,1]
	s_andn2_b64 exec, exec, s[20:21]
	s_cbranch_execnz .LBB3_928
.LBB3_929:                              ;   in Loop: Header=BB3_5 Depth=1
	s_or_b64 exec, exec, s[18:19]
	global_load_dwordx2 v[8:9], v35, s[2:3] offset:16
	s_mov_b64 s[20:21], exec
	v_mbcnt_lo_u32_b32 v1, s20, 0
	v_mbcnt_hi_u32_b32 v1, s21, v1
	v_cmp_eq_u32_e32 vcc, 0, v1
	s_and_saveexec_b64 s[18:19], vcc
	s_cbranch_execz .LBB3_931
; %bb.930:                              ;   in Loop: Header=BB3_5 Depth=1
	s_bcnt1_i32_b64 s20, s[20:21]
	v_mov_b32_e32 v2, s20
	buffer_wbl2
	s_waitcnt vmcnt(0)
	global_atomic_add_x2 v[8:9], v[2:3], off offset:8
.LBB3_931:                              ;   in Loop: Header=BB3_5 Depth=1
	s_or_b64 exec, exec, s[18:19]
	s_waitcnt vmcnt(0)
	global_load_dwordx2 v[10:11], v[8:9], off offset:16
	s_waitcnt vmcnt(0)
	v_cmp_eq_u64_e32 vcc, 0, v[10:11]
	s_cbranch_vccnz .LBB3_933
; %bb.932:                              ;   in Loop: Header=BB3_5 Depth=1
	global_load_dword v34, v[8:9], off offset:24
	s_waitcnt vmcnt(0)
	v_and_b32_e32 v1, 0xffffff, v34
	v_readfirstlane_b32 m0, v1
	buffer_wbl2
	global_store_dwordx2 v[10:11], v[34:35], off
	s_sendmsg sendmsg(MSG_INTERRUPT)
.LBB3_933:                              ;   in Loop: Header=BB3_5 Depth=1
	s_or_b64 exec, exec, s[16:17]
	v_add_co_u32_e32 v4, vcc, v4, v46
	v_addc_co_u32_e32 v5, vcc, 0, v5, vcc
	s_branch .LBB3_937
.LBB3_934:                              ;   in Loop: Header=BB3_937 Depth=2
	s_or_b64 exec, exec, s[16:17]
	v_readfirstlane_b32 s16, v1
	s_cmp_eq_u32 s16, 0
	s_cbranch_scc1 .LBB3_936
; %bb.935:                              ;   in Loop: Header=BB3_937 Depth=2
	s_sleep 1
	s_cbranch_execnz .LBB3_937
	s_branch .LBB3_939
.LBB3_936:                              ;   in Loop: Header=BB3_5 Depth=1
	s_branch .LBB3_939
.LBB3_937:                              ;   Parent Loop BB3_5 Depth=1
                                        ; =>  This Inner Loop Header: Depth=2
	v_mov_b32_e32 v1, 1
	s_and_saveexec_b64 s[16:17], s[0:1]
	s_cbranch_execz .LBB3_934
; %bb.938:                              ;   in Loop: Header=BB3_937 Depth=2
	global_load_dword v1, v[12:13], off offset:20 glc
	s_waitcnt vmcnt(0)
	buffer_invl2
	buffer_wbinvl1_vol
	v_and_b32_e32 v1, 1, v1
	s_branch .LBB3_934
.LBB3_939:                              ;   in Loop: Header=BB3_5 Depth=1
	global_load_dwordx2 v[12:13], v[4:5], off
	s_and_saveexec_b64 s[16:17], s[0:1]
	s_cbranch_execz .LBB3_943
; %bb.940:                              ;   in Loop: Header=BB3_5 Depth=1
	global_load_dwordx2 v[4:5], v35, s[2:3] offset:40
	global_load_dwordx2 v[14:15], v35, s[2:3] offset:24 glc
	global_load_dwordx2 v[16:17], v35, s[2:3]
	v_mov_b32_e32 v1, s15
	s_waitcnt vmcnt(2)
	v_add_co_u32_e32 v2, vcc, 1, v4
	v_addc_co_u32_e32 v11, vcc, 0, v5, vcc
	v_add_co_u32_e32 v8, vcc, s14, v2
	v_addc_co_u32_e32 v9, vcc, v11, v1, vcc
	v_cmp_eq_u64_e32 vcc, 0, v[8:9]
	v_cndmask_b32_e32 v9, v9, v11, vcc
	v_cndmask_b32_e32 v8, v8, v2, vcc
	v_and_b32_e32 v1, v9, v5
	v_and_b32_e32 v2, v8, v4
	v_mul_lo_u32 v1, v1, 24
	v_mul_hi_u32 v4, v2, 24
	v_mul_lo_u32 v2, v2, 24
	v_add_u32_e32 v1, v4, v1
	s_waitcnt vmcnt(0)
	v_add_co_u32_e32 v4, vcc, v16, v2
	v_addc_co_u32_e32 v5, vcc, v17, v1, vcc
	v_mov_b32_e32 v10, v14
	global_store_dwordx2 v[4:5], v[14:15], off
	v_mov_b32_e32 v11, v15
	buffer_wbl2
	s_waitcnt vmcnt(0)
	global_atomic_cmpswap_x2 v[10:11], v35, v[8:11], s[2:3] offset:24 glc
	s_waitcnt vmcnt(0)
	v_cmp_ne_u64_e32 vcc, v[10:11], v[14:15]
	s_and_b64 exec, exec, vcc
	s_cbranch_execz .LBB3_943
; %bb.941:                              ;   in Loop: Header=BB3_5 Depth=1
	s_mov_b64 s[0:1], 0
.LBB3_942:                              ;   Parent Loop BB3_5 Depth=1
                                        ; =>  This Inner Loop Header: Depth=2
	s_sleep 1
	global_store_dwordx2 v[4:5], v[10:11], off
	buffer_wbl2
	s_waitcnt vmcnt(0)
	global_atomic_cmpswap_x2 v[14:15], v35, v[8:11], s[2:3] offset:24 glc
	s_waitcnt vmcnt(0)
	v_cmp_eq_u64_e32 vcc, v[14:15], v[10:11]
	s_or_b64 s[0:1], vcc, s[0:1]
	v_pk_mov_b32 v[10:11], v[14:15], v[14:15] op_sel:[0,1]
	s_andn2_b64 exec, exec, s[0:1]
	s_cbranch_execnz .LBB3_942
.LBB3_943:                              ;   in Loop: Header=BB3_5 Depth=1
	s_or_b64 exec, exec, s[16:17]
	s_and_b64 vcc, exec, s[6:7]
	s_cbranch_vccz .LBB3_1113
; %bb.944:                              ;   in Loop: Header=BB3_5 Depth=1
	s_waitcnt vmcnt(0)
	v_and_b32_e32 v42, 2, v12
	v_and_b32_e32 v8, -3, v12
	v_mov_b32_e32 v9, v13
	s_mov_b64 s[16:17], 9
	s_getpc_b64 s[14:15]
	s_add_u32 s14, s14, .str.5@rel32@lo+4
	s_addc_u32 s15, s15, .str.5@rel32@hi+12
	s_branch .LBB3_946
.LBB3_945:                              ;   in Loop: Header=BB3_946 Depth=2
	s_or_b64 exec, exec, s[22:23]
	s_sub_u32 s16, s16, s18
	s_subb_u32 s17, s17, s19
	s_add_u32 s14, s14, s18
	s_addc_u32 s15, s15, s19
	s_cmp_lg_u64 s[16:17], 0
	s_cbranch_scc0 .LBB3_1027
.LBB3_946:                              ;   Parent Loop BB3_5 Depth=1
                                        ; =>  This Loop Header: Depth=2
                                        ;       Child Loop BB3_949 Depth 3
                                        ;       Child Loop BB3_956 Depth 3
	;; [unrolled: 1-line block ×11, first 2 shown]
	v_cmp_lt_u64_e64 s[0:1], s[16:17], 56
	s_and_b64 s[0:1], s[0:1], exec
	v_cmp_gt_u64_e64 s[0:1], s[16:17], 7
	s_cselect_b32 s19, s17, 0
	s_cselect_b32 s18, s16, 56
	s_and_b64 vcc, exec, s[0:1]
	s_cbranch_vccnz .LBB3_951
; %bb.947:                              ;   in Loop: Header=BB3_946 Depth=2
	s_mov_b64 s[0:1], 0
	s_cmp_eq_u64 s[16:17], 0
	s_waitcnt vmcnt(0)
	v_pk_mov_b32 v[10:11], 0, 0
	s_cbranch_scc1 .LBB3_950
; %bb.948:                              ;   in Loop: Header=BB3_946 Depth=2
	s_lshl_b64 s[20:21], s[18:19], 3
	s_mov_b64 s[22:23], 0
	v_pk_mov_b32 v[10:11], 0, 0
	s_mov_b64 s[24:25], s[14:15]
.LBB3_949:                              ;   Parent Loop BB3_5 Depth=1
                                        ;     Parent Loop BB3_946 Depth=2
                                        ; =>    This Inner Loop Header: Depth=3
	global_load_ubyte v1, v35, s[24:25]
	s_waitcnt vmcnt(0)
	v_and_b32_e32 v34, 0xffff, v1
	v_lshlrev_b64 v[4:5], s22, v[34:35]
	s_add_u32 s22, s22, 8
	s_addc_u32 s23, s23, 0
	s_add_u32 s24, s24, 1
	s_addc_u32 s25, s25, 0
	v_or_b32_e32 v10, v4, v10
	s_cmp_lg_u32 s20, s22
	v_or_b32_e32 v11, v5, v11
	s_cbranch_scc1 .LBB3_949
.LBB3_950:                              ;   in Loop: Header=BB3_946 Depth=2
	s_mov_b32 s24, 0
	s_andn2_b64 vcc, exec, s[0:1]
	s_mov_b64 s[0:1], s[14:15]
	s_cbranch_vccz .LBB3_952
	s_branch .LBB3_953
.LBB3_951:                              ;   in Loop: Header=BB3_946 Depth=2
                                        ; implicit-def: $vgpr10_vgpr11
                                        ; implicit-def: $sgpr24
	s_mov_b64 s[0:1], s[14:15]
.LBB3_952:                              ;   in Loop: Header=BB3_946 Depth=2
	global_load_dwordx2 v[10:11], v35, s[14:15]
	s_add_i32 s24, s18, -8
	s_add_u32 s0, s14, 8
	s_addc_u32 s1, s15, 0
.LBB3_953:                              ;   in Loop: Header=BB3_946 Depth=2
	s_cmp_gt_u32 s24, 7
	s_cbranch_scc1 .LBB3_957
; %bb.954:                              ;   in Loop: Header=BB3_946 Depth=2
	s_cmp_eq_u32 s24, 0
	s_cbranch_scc1 .LBB3_958
; %bb.955:                              ;   in Loop: Header=BB3_946 Depth=2
	s_mov_b64 s[20:21], 0
	v_pk_mov_b32 v[14:15], 0, 0
	s_mov_b64 s[22:23], 0
.LBB3_956:                              ;   Parent Loop BB3_5 Depth=1
                                        ;     Parent Loop BB3_946 Depth=2
                                        ; =>    This Inner Loop Header: Depth=3
	s_add_u32 s26, s0, s22
	s_addc_u32 s27, s1, s23
	global_load_ubyte v1, v35, s[26:27]
	s_add_u32 s22, s22, 1
	s_addc_u32 s23, s23, 0
	s_waitcnt vmcnt(0)
	v_and_b32_e32 v34, 0xffff, v1
	v_lshlrev_b64 v[4:5], s20, v[34:35]
	s_add_u32 s20, s20, 8
	s_addc_u32 s21, s21, 0
	v_or_b32_e32 v14, v4, v14
	s_cmp_lg_u32 s24, s22
	v_or_b32_e32 v15, v5, v15
	s_cbranch_scc1 .LBB3_956
	s_branch .LBB3_959
.LBB3_957:                              ;   in Loop: Header=BB3_946 Depth=2
                                        ; implicit-def: $vgpr14_vgpr15
                                        ; implicit-def: $sgpr25
	s_branch .LBB3_960
.LBB3_958:                              ;   in Loop: Header=BB3_946 Depth=2
	v_pk_mov_b32 v[14:15], 0, 0
.LBB3_959:                              ;   in Loop: Header=BB3_946 Depth=2
	s_mov_b32 s25, 0
	s_cbranch_execnz .LBB3_961
.LBB3_960:                              ;   in Loop: Header=BB3_946 Depth=2
	global_load_dwordx2 v[14:15], v35, s[0:1]
	s_add_i32 s25, s24, -8
	s_add_u32 s0, s0, 8
	s_addc_u32 s1, s1, 0
.LBB3_961:                              ;   in Loop: Header=BB3_946 Depth=2
	s_cmp_gt_u32 s25, 7
	s_cbranch_scc1 .LBB3_965
; %bb.962:                              ;   in Loop: Header=BB3_946 Depth=2
	s_cmp_eq_u32 s25, 0
	s_cbranch_scc1 .LBB3_966
; %bb.963:                              ;   in Loop: Header=BB3_946 Depth=2
	s_mov_b64 s[20:21], 0
	v_pk_mov_b32 v[16:17], 0, 0
	s_mov_b64 s[22:23], 0
.LBB3_964:                              ;   Parent Loop BB3_5 Depth=1
                                        ;     Parent Loop BB3_946 Depth=2
                                        ; =>    This Inner Loop Header: Depth=3
	s_add_u32 s26, s0, s22
	s_addc_u32 s27, s1, s23
	global_load_ubyte v1, v35, s[26:27]
	s_add_u32 s22, s22, 1
	s_addc_u32 s23, s23, 0
	s_waitcnt vmcnt(0)
	v_and_b32_e32 v34, 0xffff, v1
	v_lshlrev_b64 v[4:5], s20, v[34:35]
	s_add_u32 s20, s20, 8
	s_addc_u32 s21, s21, 0
	v_or_b32_e32 v16, v4, v16
	s_cmp_lg_u32 s25, s22
	v_or_b32_e32 v17, v5, v17
	s_cbranch_scc1 .LBB3_964
	s_branch .LBB3_967
.LBB3_965:                              ;   in Loop: Header=BB3_946 Depth=2
                                        ; implicit-def: $sgpr24
	s_branch .LBB3_968
.LBB3_966:                              ;   in Loop: Header=BB3_946 Depth=2
	v_pk_mov_b32 v[16:17], 0, 0
.LBB3_967:                              ;   in Loop: Header=BB3_946 Depth=2
	s_mov_b32 s24, 0
	s_cbranch_execnz .LBB3_969
.LBB3_968:                              ;   in Loop: Header=BB3_946 Depth=2
	global_load_dwordx2 v[16:17], v35, s[0:1]
	s_add_i32 s24, s25, -8
	s_add_u32 s0, s0, 8
	s_addc_u32 s1, s1, 0
.LBB3_969:                              ;   in Loop: Header=BB3_946 Depth=2
	s_cmp_gt_u32 s24, 7
	s_cbranch_scc1 .LBB3_973
; %bb.970:                              ;   in Loop: Header=BB3_946 Depth=2
	s_cmp_eq_u32 s24, 0
	s_cbranch_scc1 .LBB3_974
; %bb.971:                              ;   in Loop: Header=BB3_946 Depth=2
	s_mov_b64 s[20:21], 0
	v_pk_mov_b32 v[18:19], 0, 0
	s_mov_b64 s[22:23], 0
.LBB3_972:                              ;   Parent Loop BB3_5 Depth=1
                                        ;     Parent Loop BB3_946 Depth=2
                                        ; =>    This Inner Loop Header: Depth=3
	s_add_u32 s26, s0, s22
	s_addc_u32 s27, s1, s23
	global_load_ubyte v1, v35, s[26:27]
	s_add_u32 s22, s22, 1
	s_addc_u32 s23, s23, 0
	s_waitcnt vmcnt(0)
	v_and_b32_e32 v34, 0xffff, v1
	v_lshlrev_b64 v[4:5], s20, v[34:35]
	s_add_u32 s20, s20, 8
	s_addc_u32 s21, s21, 0
	v_or_b32_e32 v18, v4, v18
	s_cmp_lg_u32 s24, s22
	v_or_b32_e32 v19, v5, v19
	s_cbranch_scc1 .LBB3_972
	s_branch .LBB3_975
.LBB3_973:                              ;   in Loop: Header=BB3_946 Depth=2
                                        ; implicit-def: $vgpr18_vgpr19
                                        ; implicit-def: $sgpr25
	s_branch .LBB3_976
.LBB3_974:                              ;   in Loop: Header=BB3_946 Depth=2
	v_pk_mov_b32 v[18:19], 0, 0
.LBB3_975:                              ;   in Loop: Header=BB3_946 Depth=2
	s_mov_b32 s25, 0
	s_cbranch_execnz .LBB3_977
.LBB3_976:                              ;   in Loop: Header=BB3_946 Depth=2
	global_load_dwordx2 v[18:19], v35, s[0:1]
	s_add_i32 s25, s24, -8
	s_add_u32 s0, s0, 8
	s_addc_u32 s1, s1, 0
.LBB3_977:                              ;   in Loop: Header=BB3_946 Depth=2
	s_cmp_gt_u32 s25, 7
	s_cbranch_scc1 .LBB3_981
; %bb.978:                              ;   in Loop: Header=BB3_946 Depth=2
	s_cmp_eq_u32 s25, 0
	s_cbranch_scc1 .LBB3_982
; %bb.979:                              ;   in Loop: Header=BB3_946 Depth=2
	s_mov_b64 s[20:21], 0
	v_pk_mov_b32 v[20:21], 0, 0
	s_mov_b64 s[22:23], 0
.LBB3_980:                              ;   Parent Loop BB3_5 Depth=1
                                        ;     Parent Loop BB3_946 Depth=2
                                        ; =>    This Inner Loop Header: Depth=3
	s_add_u32 s26, s0, s22
	s_addc_u32 s27, s1, s23
	global_load_ubyte v1, v35, s[26:27]
	s_add_u32 s22, s22, 1
	s_addc_u32 s23, s23, 0
	s_waitcnt vmcnt(0)
	v_and_b32_e32 v34, 0xffff, v1
	v_lshlrev_b64 v[4:5], s20, v[34:35]
	s_add_u32 s20, s20, 8
	s_addc_u32 s21, s21, 0
	v_or_b32_e32 v20, v4, v20
	s_cmp_lg_u32 s25, s22
	v_or_b32_e32 v21, v5, v21
	s_cbranch_scc1 .LBB3_980
	s_branch .LBB3_983
.LBB3_981:                              ;   in Loop: Header=BB3_946 Depth=2
                                        ; implicit-def: $sgpr24
	s_branch .LBB3_984
.LBB3_982:                              ;   in Loop: Header=BB3_946 Depth=2
	v_pk_mov_b32 v[20:21], 0, 0
.LBB3_983:                              ;   in Loop: Header=BB3_946 Depth=2
	s_mov_b32 s24, 0
	s_cbranch_execnz .LBB3_985
.LBB3_984:                              ;   in Loop: Header=BB3_946 Depth=2
	global_load_dwordx2 v[20:21], v35, s[0:1]
	s_add_i32 s24, s25, -8
	s_add_u32 s0, s0, 8
	s_addc_u32 s1, s1, 0
.LBB3_985:                              ;   in Loop: Header=BB3_946 Depth=2
	s_cmp_gt_u32 s24, 7
	s_cbranch_scc1 .LBB3_989
; %bb.986:                              ;   in Loop: Header=BB3_946 Depth=2
	s_cmp_eq_u32 s24, 0
	s_cbranch_scc1 .LBB3_990
; %bb.987:                              ;   in Loop: Header=BB3_946 Depth=2
	s_mov_b64 s[20:21], 0
	v_pk_mov_b32 v[22:23], 0, 0
	s_mov_b64 s[22:23], 0
.LBB3_988:                              ;   Parent Loop BB3_5 Depth=1
                                        ;     Parent Loop BB3_946 Depth=2
                                        ; =>    This Inner Loop Header: Depth=3
	s_add_u32 s26, s0, s22
	s_addc_u32 s27, s1, s23
	global_load_ubyte v1, v35, s[26:27]
	s_add_u32 s22, s22, 1
	s_addc_u32 s23, s23, 0
	s_waitcnt vmcnt(0)
	v_and_b32_e32 v34, 0xffff, v1
	v_lshlrev_b64 v[4:5], s20, v[34:35]
	s_add_u32 s20, s20, 8
	s_addc_u32 s21, s21, 0
	v_or_b32_e32 v22, v4, v22
	s_cmp_lg_u32 s24, s22
	v_or_b32_e32 v23, v5, v23
	s_cbranch_scc1 .LBB3_988
	s_branch .LBB3_991
.LBB3_989:                              ;   in Loop: Header=BB3_946 Depth=2
                                        ; implicit-def: $vgpr22_vgpr23
                                        ; implicit-def: $sgpr25
	s_branch .LBB3_992
.LBB3_990:                              ;   in Loop: Header=BB3_946 Depth=2
	v_pk_mov_b32 v[22:23], 0, 0
.LBB3_991:                              ;   in Loop: Header=BB3_946 Depth=2
	s_mov_b32 s25, 0
	s_cbranch_execnz .LBB3_993
.LBB3_992:                              ;   in Loop: Header=BB3_946 Depth=2
	global_load_dwordx2 v[22:23], v35, s[0:1]
	s_add_i32 s25, s24, -8
	s_add_u32 s0, s0, 8
	s_addc_u32 s1, s1, 0
.LBB3_993:                              ;   in Loop: Header=BB3_946 Depth=2
	s_cmp_gt_u32 s25, 7
	s_cbranch_scc1 .LBB3_997
; %bb.994:                              ;   in Loop: Header=BB3_946 Depth=2
	s_cmp_eq_u32 s25, 0
	s_cbranch_scc1 .LBB3_998
; %bb.995:                              ;   in Loop: Header=BB3_946 Depth=2
	s_mov_b64 s[20:21], 0
	v_pk_mov_b32 v[24:25], 0, 0
	s_mov_b64 s[22:23], s[0:1]
.LBB3_996:                              ;   Parent Loop BB3_5 Depth=1
                                        ;     Parent Loop BB3_946 Depth=2
                                        ; =>    This Inner Loop Header: Depth=3
	global_load_ubyte v1, v35, s[22:23]
	s_add_i32 s25, s25, -1
	s_waitcnt vmcnt(0)
	v_and_b32_e32 v34, 0xffff, v1
	v_lshlrev_b64 v[4:5], s20, v[34:35]
	s_add_u32 s20, s20, 8
	s_addc_u32 s21, s21, 0
	s_add_u32 s22, s22, 1
	s_addc_u32 s23, s23, 0
	v_or_b32_e32 v24, v4, v24
	s_cmp_lg_u32 s25, 0
	v_or_b32_e32 v25, v5, v25
	s_cbranch_scc1 .LBB3_996
	s_branch .LBB3_999
.LBB3_997:                              ;   in Loop: Header=BB3_946 Depth=2
	s_branch .LBB3_1000
.LBB3_998:                              ;   in Loop: Header=BB3_946 Depth=2
	v_pk_mov_b32 v[24:25], 0, 0
.LBB3_999:                              ;   in Loop: Header=BB3_946 Depth=2
	s_cbranch_execnz .LBB3_1001
.LBB3_1000:                             ;   in Loop: Header=BB3_946 Depth=2
	global_load_dwordx2 v[24:25], v35, s[0:1]
.LBB3_1001:                             ;   in Loop: Header=BB3_946 Depth=2
	v_readfirstlane_b32 s0, v32
	v_cmp_eq_u32_e64 s[0:1], s0, v32
	v_pk_mov_b32 v[4:5], 0, 0
	s_and_saveexec_b64 s[20:21], s[0:1]
	s_cbranch_execz .LBB3_1007
; %bb.1002:                             ;   in Loop: Header=BB3_946 Depth=2
	global_load_dwordx2 v[28:29], v35, s[2:3] offset:24 glc
	s_waitcnt vmcnt(0)
	buffer_invl2
	buffer_wbinvl1_vol
	global_load_dwordx2 v[4:5], v35, s[2:3] offset:40
	global_load_dwordx2 v[26:27], v35, s[2:3]
	s_waitcnt vmcnt(1)
	v_and_b32_e32 v1, v4, v28
	v_and_b32_e32 v2, v5, v29
	v_mul_lo_u32 v2, v2, 24
	v_mul_hi_u32 v4, v1, 24
	v_mul_lo_u32 v1, v1, 24
	v_add_u32_e32 v2, v4, v2
	s_waitcnt vmcnt(0)
	v_add_co_u32_e32 v4, vcc, v26, v1
	v_addc_co_u32_e32 v5, vcc, v27, v2, vcc
	global_load_dwordx2 v[26:27], v[4:5], off glc
	s_waitcnt vmcnt(0)
	global_atomic_cmpswap_x2 v[4:5], v35, v[26:29], s[2:3] offset:24 glc
	s_waitcnt vmcnt(0)
	buffer_invl2
	buffer_wbinvl1_vol
	v_cmp_ne_u64_e32 vcc, v[4:5], v[28:29]
	s_and_saveexec_b64 s[22:23], vcc
	s_cbranch_execz .LBB3_1006
; %bb.1003:                             ;   in Loop: Header=BB3_946 Depth=2
	s_mov_b64 s[24:25], 0
.LBB3_1004:                             ;   Parent Loop BB3_5 Depth=1
                                        ;     Parent Loop BB3_946 Depth=2
                                        ; =>    This Inner Loop Header: Depth=3
	s_sleep 1
	global_load_dwordx2 v[26:27], v35, s[2:3] offset:40
	global_load_dwordx2 v[44:45], v35, s[2:3]
	v_pk_mov_b32 v[28:29], v[4:5], v[4:5] op_sel:[0,1]
	s_waitcnt vmcnt(1)
	v_and_b32_e32 v2, v26, v28
	s_waitcnt vmcnt(0)
	v_mad_u64_u32 v[4:5], s[26:27], v2, 24, v[44:45]
	v_and_b32_e32 v1, v27, v29
	v_mov_b32_e32 v2, v5
	v_mad_u64_u32 v[26:27], s[26:27], v1, 24, v[2:3]
	v_mov_b32_e32 v5, v26
	global_load_dwordx2 v[26:27], v[4:5], off glc
	s_waitcnt vmcnt(0)
	global_atomic_cmpswap_x2 v[4:5], v35, v[26:29], s[2:3] offset:24 glc
	s_waitcnt vmcnt(0)
	buffer_invl2
	buffer_wbinvl1_vol
	v_cmp_eq_u64_e32 vcc, v[4:5], v[28:29]
	s_or_b64 s[24:25], vcc, s[24:25]
	s_andn2_b64 exec, exec, s[24:25]
	s_cbranch_execnz .LBB3_1004
; %bb.1005:                             ;   in Loop: Header=BB3_946 Depth=2
	s_or_b64 exec, exec, s[24:25]
.LBB3_1006:                             ;   in Loop: Header=BB3_946 Depth=2
	s_or_b64 exec, exec, s[22:23]
.LBB3_1007:                             ;   in Loop: Header=BB3_946 Depth=2
	s_or_b64 exec, exec, s[20:21]
	global_load_dwordx2 v[44:45], v35, s[2:3] offset:40
	global_load_dwordx4 v[26:29], v35, s[2:3]
	v_readfirstlane_b32 s20, v4
	v_readfirstlane_b32 s21, v5
	s_mov_b64 s[22:23], exec
	s_waitcnt vmcnt(1)
	v_readfirstlane_b32 s24, v44
	v_readfirstlane_b32 s25, v45
	s_and_b64 s[24:25], s[20:21], s[24:25]
	s_mul_i32 s26, s25, 24
	s_mul_hi_u32 s27, s24, 24
	s_mul_i32 s33, s24, 24
	s_add_i32 s26, s27, s26
	v_mov_b32_e32 v1, s26
	s_waitcnt vmcnt(0)
	v_add_co_u32_e32 v44, vcc, s33, v26
	v_addc_co_u32_e32 v45, vcc, v27, v1, vcc
	s_and_saveexec_b64 s[26:27], s[0:1]
	s_cbranch_execz .LBB3_1009
; %bb.1008:                             ;   in Loop: Header=BB3_946 Depth=2
	v_pk_mov_b32 v[4:5], s[22:23], s[22:23] op_sel:[0,1]
	global_store_dwordx4 v[44:45], v[4:7], off offset:8
.LBB3_1009:                             ;   in Loop: Header=BB3_946 Depth=2
	s_or_b64 exec, exec, s[26:27]
	s_lshl_b64 s[22:23], s[24:25], 12
	v_mov_b32_e32 v1, s23
	v_add_co_u32_e32 v4, vcc, s22, v28
	v_addc_co_u32_e32 v1, vcc, v29, v1, vcc
	v_or_b32_e32 v2, 0, v9
	v_or_b32_e32 v5, v8, v42
	v_cmp_gt_u64_e64 vcc, s[16:17], 56
	s_lshl_b32 s22, s18, 2
	v_cndmask_b32_e32 v9, v2, v9, vcc
	v_cndmask_b32_e32 v2, v5, v8, vcc
	s_add_i32 s22, s22, 28
	s_and_b32 s22, s22, 0x1e0
	v_and_b32_e32 v2, 0xffffff1f, v2
	v_or_b32_e32 v8, s22, v2
	v_readfirstlane_b32 s22, v4
	v_readfirstlane_b32 s23, v1
	s_nop 4
	global_store_dwordx4 v46, v[8:11], s[22:23]
	global_store_dwordx4 v46, v[14:17], s[22:23] offset:16
	global_store_dwordx4 v46, v[18:21], s[22:23] offset:32
	;; [unrolled: 1-line block ×3, first 2 shown]
	s_and_saveexec_b64 s[22:23], s[0:1]
	s_cbranch_execz .LBB3_1017
; %bb.1010:                             ;   in Loop: Header=BB3_946 Depth=2
	global_load_dwordx2 v[18:19], v35, s[2:3] offset:32 glc
	global_load_dwordx2 v[8:9], v35, s[2:3] offset:40
	v_mov_b32_e32 v16, s20
	v_mov_b32_e32 v17, s21
	s_waitcnt vmcnt(0)
	v_readfirstlane_b32 s24, v8
	v_readfirstlane_b32 s25, v9
	s_and_b64 s[24:25], s[24:25], s[20:21]
	s_mul_i32 s25, s25, 24
	s_mul_hi_u32 s26, s24, 24
	s_mul_i32 s24, s24, 24
	s_add_i32 s25, s26, s25
	v_mov_b32_e32 v2, s25
	v_add_co_u32_e32 v14, vcc, s24, v26
	v_addc_co_u32_e32 v15, vcc, v27, v2, vcc
	global_store_dwordx2 v[14:15], v[18:19], off
	buffer_wbl2
	s_waitcnt vmcnt(0)
	global_atomic_cmpswap_x2 v[10:11], v35, v[16:19], s[2:3] offset:32 glc
	s_waitcnt vmcnt(0)
	v_cmp_ne_u64_e32 vcc, v[10:11], v[18:19]
	s_and_saveexec_b64 s[24:25], vcc
	s_cbranch_execz .LBB3_1013
; %bb.1011:                             ;   in Loop: Header=BB3_946 Depth=2
	s_mov_b64 s[26:27], 0
.LBB3_1012:                             ;   Parent Loop BB3_5 Depth=1
                                        ;     Parent Loop BB3_946 Depth=2
                                        ; =>    This Inner Loop Header: Depth=3
	s_sleep 1
	global_store_dwordx2 v[14:15], v[10:11], off
	v_mov_b32_e32 v8, s20
	v_mov_b32_e32 v9, s21
	buffer_wbl2
	s_waitcnt vmcnt(0)
	global_atomic_cmpswap_x2 v[8:9], v35, v[8:11], s[2:3] offset:32 glc
	s_waitcnt vmcnt(0)
	v_cmp_eq_u64_e32 vcc, v[8:9], v[10:11]
	s_or_b64 s[26:27], vcc, s[26:27]
	v_pk_mov_b32 v[10:11], v[8:9], v[8:9] op_sel:[0,1]
	s_andn2_b64 exec, exec, s[26:27]
	s_cbranch_execnz .LBB3_1012
.LBB3_1013:                             ;   in Loop: Header=BB3_946 Depth=2
	s_or_b64 exec, exec, s[24:25]
	global_load_dwordx2 v[8:9], v35, s[2:3] offset:16
	s_mov_b64 s[26:27], exec
	v_mbcnt_lo_u32_b32 v2, s26, 0
	v_mbcnt_hi_u32_b32 v2, s27, v2
	v_cmp_eq_u32_e32 vcc, 0, v2
	s_and_saveexec_b64 s[24:25], vcc
	s_cbranch_execz .LBB3_1015
; %bb.1014:                             ;   in Loop: Header=BB3_946 Depth=2
	s_bcnt1_i32_b64 s26, s[26:27]
	v_mov_b32_e32 v2, s26
	buffer_wbl2
	s_waitcnt vmcnt(0)
	global_atomic_add_x2 v[8:9], v[2:3], off offset:8
.LBB3_1015:                             ;   in Loop: Header=BB3_946 Depth=2
	s_or_b64 exec, exec, s[24:25]
	s_waitcnt vmcnt(0)
	global_load_dwordx2 v[10:11], v[8:9], off offset:16
	s_waitcnt vmcnt(0)
	v_cmp_eq_u64_e32 vcc, 0, v[10:11]
	s_cbranch_vccnz .LBB3_1017
; %bb.1016:                             ;   in Loop: Header=BB3_946 Depth=2
	global_load_dword v34, v[8:9], off offset:24
	s_waitcnt vmcnt(0)
	v_and_b32_e32 v2, 0xffffff, v34
	v_readfirstlane_b32 m0, v2
	buffer_wbl2
	global_store_dwordx2 v[10:11], v[34:35], off
	s_sendmsg sendmsg(MSG_INTERRUPT)
.LBB3_1017:                             ;   in Loop: Header=BB3_946 Depth=2
	s_or_b64 exec, exec, s[22:23]
	v_add_co_u32_e32 v4, vcc, v4, v46
	v_addc_co_u32_e32 v5, vcc, 0, v1, vcc
	s_branch .LBB3_1021
.LBB3_1018:                             ;   in Loop: Header=BB3_1021 Depth=3
	s_or_b64 exec, exec, s[22:23]
	v_readfirstlane_b32 s22, v1
	s_cmp_eq_u32 s22, 0
	s_cbranch_scc1 .LBB3_1020
; %bb.1019:                             ;   in Loop: Header=BB3_1021 Depth=3
	s_sleep 1
	s_cbranch_execnz .LBB3_1021
	s_branch .LBB3_1023
.LBB3_1020:                             ;   in Loop: Header=BB3_946 Depth=2
	s_branch .LBB3_1023
.LBB3_1021:                             ;   Parent Loop BB3_5 Depth=1
                                        ;     Parent Loop BB3_946 Depth=2
                                        ; =>    This Inner Loop Header: Depth=3
	v_mov_b32_e32 v1, 1
	s_and_saveexec_b64 s[22:23], s[0:1]
	s_cbranch_execz .LBB3_1018
; %bb.1022:                             ;   in Loop: Header=BB3_1021 Depth=3
	global_load_dword v1, v[44:45], off offset:20 glc
	s_waitcnt vmcnt(0)
	buffer_invl2
	buffer_wbinvl1_vol
	v_and_b32_e32 v1, 1, v1
	s_branch .LBB3_1018
.LBB3_1023:                             ;   in Loop: Header=BB3_946 Depth=2
	global_load_dwordx4 v[8:11], v[4:5], off
	s_and_saveexec_b64 s[22:23], s[0:1]
	s_cbranch_execz .LBB3_945
; %bb.1024:                             ;   in Loop: Header=BB3_946 Depth=2
	global_load_dwordx2 v[4:5], v35, s[2:3] offset:40
	global_load_dwordx2 v[10:11], v35, s[2:3] offset:24 glc
	global_load_dwordx2 v[18:19], v35, s[2:3]
	v_mov_b32_e32 v1, s21
	s_waitcnt vmcnt(2)
	v_add_co_u32_e32 v2, vcc, 1, v4
	v_addc_co_u32_e32 v17, vcc, 0, v5, vcc
	v_add_co_u32_e32 v14, vcc, s20, v2
	v_addc_co_u32_e32 v15, vcc, v17, v1, vcc
	v_cmp_eq_u64_e32 vcc, 0, v[14:15]
	v_cndmask_b32_e32 v15, v15, v17, vcc
	v_cndmask_b32_e32 v14, v14, v2, vcc
	v_and_b32_e32 v1, v15, v5
	v_and_b32_e32 v2, v14, v4
	v_mul_lo_u32 v1, v1, 24
	v_mul_hi_u32 v4, v2, 24
	v_mul_lo_u32 v2, v2, 24
	v_add_u32_e32 v1, v4, v1
	s_waitcnt vmcnt(0)
	v_add_co_u32_e32 v4, vcc, v18, v2
	v_addc_co_u32_e32 v5, vcc, v19, v1, vcc
	v_mov_b32_e32 v16, v10
	global_store_dwordx2 v[4:5], v[10:11], off
	v_mov_b32_e32 v17, v11
	buffer_wbl2
	s_waitcnt vmcnt(0)
	global_atomic_cmpswap_x2 v[16:17], v35, v[14:17], s[2:3] offset:24 glc
	s_waitcnt vmcnt(0)
	v_cmp_ne_u64_e32 vcc, v[16:17], v[10:11]
	s_and_b64 exec, exec, vcc
	s_cbranch_execz .LBB3_945
; %bb.1025:                             ;   in Loop: Header=BB3_946 Depth=2
	s_mov_b64 s[0:1], 0
.LBB3_1026:                             ;   Parent Loop BB3_5 Depth=1
                                        ;     Parent Loop BB3_946 Depth=2
                                        ; =>    This Inner Loop Header: Depth=3
	s_sleep 1
	global_store_dwordx2 v[4:5], v[16:17], off
	buffer_wbl2
	s_waitcnt vmcnt(0)
	global_atomic_cmpswap_x2 v[10:11], v35, v[14:17], s[2:3] offset:24 glc
	s_waitcnt vmcnt(0)
	v_cmp_eq_u64_e32 vcc, v[10:11], v[16:17]
	s_or_b64 s[0:1], vcc, s[0:1]
	v_pk_mov_b32 v[16:17], v[10:11], v[10:11] op_sel:[0,1]
	s_andn2_b64 exec, exec, s[0:1]
	s_cbranch_execnz .LBB3_1026
	s_branch .LBB3_945
.LBB3_1027:                             ;   in Loop: Header=BB3_5 Depth=1
.LBB3_1028:                             ;   in Loop: Header=BB3_5 Depth=1
	s_and_b64 vcc, exec, s[12:13]
	s_cbranch_vccz .LBB3_1141
.LBB3_1029:                             ;   in Loop: Header=BB3_5 Depth=1
	s_waitcnt vmcnt(0)
	v_and_b32_e32 v42, 2, v8
	v_and_b32_e32 v10, -3, v8
	v_mov_b32_e32 v11, v9
	s_mov_b64 s[16:17], 56
	s_getpc_b64 s[14:15]
	s_add_u32 s14, s14, .str.4@rel32@lo+4
	s_addc_u32 s15, s15, .str.4@rel32@hi+12
	s_branch .LBB3_1031
.LBB3_1030:                             ;   in Loop: Header=BB3_1031 Depth=2
	s_or_b64 exec, exec, s[22:23]
	s_sub_u32 s16, s16, s18
	s_subb_u32 s17, s17, s19
	s_add_u32 s14, s14, s18
	s_addc_u32 s15, s15, s19
	s_cmp_lg_u64 s[16:17], 0
	s_cbranch_scc0 .LBB3_1112
.LBB3_1031:                             ;   Parent Loop BB3_5 Depth=1
                                        ; =>  This Loop Header: Depth=2
                                        ;       Child Loop BB3_1034 Depth 3
                                        ;       Child Loop BB3_1041 Depth 3
	;; [unrolled: 1-line block ×11, first 2 shown]
	v_cmp_lt_u64_e64 s[0:1], s[16:17], 56
	s_and_b64 s[0:1], s[0:1], exec
	v_cmp_gt_u64_e64 s[0:1], s[16:17], 7
	s_cselect_b32 s19, s17, 0
	s_cselect_b32 s18, s16, 56
	s_and_b64 vcc, exec, s[0:1]
	s_cbranch_vccnz .LBB3_1036
; %bb.1032:                             ;   in Loop: Header=BB3_1031 Depth=2
	s_mov_b64 s[0:1], 0
	s_cmp_eq_u64 s[16:17], 0
	s_waitcnt vmcnt(0)
	v_pk_mov_b32 v[12:13], 0, 0
	s_cbranch_scc1 .LBB3_1035
; %bb.1033:                             ;   in Loop: Header=BB3_1031 Depth=2
	s_lshl_b64 s[20:21], s[18:19], 3
	s_mov_b64 s[22:23], 0
	v_pk_mov_b32 v[12:13], 0, 0
	s_mov_b64 s[24:25], s[14:15]
.LBB3_1034:                             ;   Parent Loop BB3_5 Depth=1
                                        ;     Parent Loop BB3_1031 Depth=2
                                        ; =>    This Inner Loop Header: Depth=3
	global_load_ubyte v1, v35, s[24:25]
	s_waitcnt vmcnt(0)
	v_and_b32_e32 v34, 0xffff, v1
	v_lshlrev_b64 v[4:5], s22, v[34:35]
	s_add_u32 s22, s22, 8
	s_addc_u32 s23, s23, 0
	s_add_u32 s24, s24, 1
	s_addc_u32 s25, s25, 0
	v_or_b32_e32 v12, v4, v12
	s_cmp_lg_u32 s20, s22
	v_or_b32_e32 v13, v5, v13
	s_cbranch_scc1 .LBB3_1034
.LBB3_1035:                             ;   in Loop: Header=BB3_1031 Depth=2
	s_mov_b32 s24, 0
	s_andn2_b64 vcc, exec, s[0:1]
	s_mov_b64 s[0:1], s[14:15]
	s_cbranch_vccz .LBB3_1037
	s_branch .LBB3_1038
.LBB3_1036:                             ;   in Loop: Header=BB3_1031 Depth=2
                                        ; implicit-def: $vgpr12_vgpr13
                                        ; implicit-def: $sgpr24
	s_mov_b64 s[0:1], s[14:15]
.LBB3_1037:                             ;   in Loop: Header=BB3_1031 Depth=2
	global_load_dwordx2 v[12:13], v35, s[14:15]
	s_add_i32 s24, s18, -8
	s_add_u32 s0, s14, 8
	s_addc_u32 s1, s15, 0
.LBB3_1038:                             ;   in Loop: Header=BB3_1031 Depth=2
	s_cmp_gt_u32 s24, 7
	s_cbranch_scc1 .LBB3_1042
; %bb.1039:                             ;   in Loop: Header=BB3_1031 Depth=2
	s_cmp_eq_u32 s24, 0
	s_cbranch_scc1 .LBB3_1043
; %bb.1040:                             ;   in Loop: Header=BB3_1031 Depth=2
	s_mov_b64 s[20:21], 0
	v_pk_mov_b32 v[14:15], 0, 0
	s_mov_b64 s[22:23], 0
.LBB3_1041:                             ;   Parent Loop BB3_5 Depth=1
                                        ;     Parent Loop BB3_1031 Depth=2
                                        ; =>    This Inner Loop Header: Depth=3
	s_add_u32 s26, s0, s22
	s_addc_u32 s27, s1, s23
	global_load_ubyte v1, v35, s[26:27]
	s_add_u32 s22, s22, 1
	s_addc_u32 s23, s23, 0
	s_waitcnt vmcnt(0)
	v_and_b32_e32 v34, 0xffff, v1
	v_lshlrev_b64 v[4:5], s20, v[34:35]
	s_add_u32 s20, s20, 8
	s_addc_u32 s21, s21, 0
	v_or_b32_e32 v14, v4, v14
	s_cmp_lg_u32 s24, s22
	v_or_b32_e32 v15, v5, v15
	s_cbranch_scc1 .LBB3_1041
	s_branch .LBB3_1044
.LBB3_1042:                             ;   in Loop: Header=BB3_1031 Depth=2
                                        ; implicit-def: $vgpr14_vgpr15
                                        ; implicit-def: $sgpr25
	s_branch .LBB3_1045
.LBB3_1043:                             ;   in Loop: Header=BB3_1031 Depth=2
	v_pk_mov_b32 v[14:15], 0, 0
.LBB3_1044:                             ;   in Loop: Header=BB3_1031 Depth=2
	s_mov_b32 s25, 0
	s_cbranch_execnz .LBB3_1046
.LBB3_1045:                             ;   in Loop: Header=BB3_1031 Depth=2
	global_load_dwordx2 v[14:15], v35, s[0:1]
	s_add_i32 s25, s24, -8
	s_add_u32 s0, s0, 8
	s_addc_u32 s1, s1, 0
.LBB3_1046:                             ;   in Loop: Header=BB3_1031 Depth=2
	s_cmp_gt_u32 s25, 7
	s_cbranch_scc1 .LBB3_1050
; %bb.1047:                             ;   in Loop: Header=BB3_1031 Depth=2
	s_cmp_eq_u32 s25, 0
	s_cbranch_scc1 .LBB3_1051
; %bb.1048:                             ;   in Loop: Header=BB3_1031 Depth=2
	s_mov_b64 s[20:21], 0
	v_pk_mov_b32 v[16:17], 0, 0
	s_mov_b64 s[22:23], 0
.LBB3_1049:                             ;   Parent Loop BB3_5 Depth=1
                                        ;     Parent Loop BB3_1031 Depth=2
                                        ; =>    This Inner Loop Header: Depth=3
	s_add_u32 s26, s0, s22
	s_addc_u32 s27, s1, s23
	global_load_ubyte v1, v35, s[26:27]
	s_add_u32 s22, s22, 1
	s_addc_u32 s23, s23, 0
	s_waitcnt vmcnt(0)
	v_and_b32_e32 v34, 0xffff, v1
	v_lshlrev_b64 v[4:5], s20, v[34:35]
	s_add_u32 s20, s20, 8
	s_addc_u32 s21, s21, 0
	v_or_b32_e32 v16, v4, v16
	s_cmp_lg_u32 s25, s22
	v_or_b32_e32 v17, v5, v17
	s_cbranch_scc1 .LBB3_1049
	s_branch .LBB3_1052
.LBB3_1050:                             ;   in Loop: Header=BB3_1031 Depth=2
                                        ; implicit-def: $sgpr24
	s_branch .LBB3_1053
.LBB3_1051:                             ;   in Loop: Header=BB3_1031 Depth=2
	v_pk_mov_b32 v[16:17], 0, 0
.LBB3_1052:                             ;   in Loop: Header=BB3_1031 Depth=2
	s_mov_b32 s24, 0
	s_cbranch_execnz .LBB3_1054
.LBB3_1053:                             ;   in Loop: Header=BB3_1031 Depth=2
	global_load_dwordx2 v[16:17], v35, s[0:1]
	s_add_i32 s24, s25, -8
	s_add_u32 s0, s0, 8
	s_addc_u32 s1, s1, 0
.LBB3_1054:                             ;   in Loop: Header=BB3_1031 Depth=2
	s_cmp_gt_u32 s24, 7
	s_cbranch_scc1 .LBB3_1058
; %bb.1055:                             ;   in Loop: Header=BB3_1031 Depth=2
	s_cmp_eq_u32 s24, 0
	s_cbranch_scc1 .LBB3_1059
; %bb.1056:                             ;   in Loop: Header=BB3_1031 Depth=2
	s_mov_b64 s[20:21], 0
	v_pk_mov_b32 v[18:19], 0, 0
	s_mov_b64 s[22:23], 0
.LBB3_1057:                             ;   Parent Loop BB3_5 Depth=1
                                        ;     Parent Loop BB3_1031 Depth=2
                                        ; =>    This Inner Loop Header: Depth=3
	s_add_u32 s26, s0, s22
	s_addc_u32 s27, s1, s23
	global_load_ubyte v1, v35, s[26:27]
	s_add_u32 s22, s22, 1
	s_addc_u32 s23, s23, 0
	s_waitcnt vmcnt(0)
	v_and_b32_e32 v34, 0xffff, v1
	v_lshlrev_b64 v[4:5], s20, v[34:35]
	s_add_u32 s20, s20, 8
	s_addc_u32 s21, s21, 0
	v_or_b32_e32 v18, v4, v18
	s_cmp_lg_u32 s24, s22
	v_or_b32_e32 v19, v5, v19
	s_cbranch_scc1 .LBB3_1057
	s_branch .LBB3_1060
.LBB3_1058:                             ;   in Loop: Header=BB3_1031 Depth=2
                                        ; implicit-def: $vgpr18_vgpr19
                                        ; implicit-def: $sgpr25
	s_branch .LBB3_1061
.LBB3_1059:                             ;   in Loop: Header=BB3_1031 Depth=2
	v_pk_mov_b32 v[18:19], 0, 0
.LBB3_1060:                             ;   in Loop: Header=BB3_1031 Depth=2
	s_mov_b32 s25, 0
	s_cbranch_execnz .LBB3_1062
.LBB3_1061:                             ;   in Loop: Header=BB3_1031 Depth=2
	global_load_dwordx2 v[18:19], v35, s[0:1]
	s_add_i32 s25, s24, -8
	s_add_u32 s0, s0, 8
	s_addc_u32 s1, s1, 0
.LBB3_1062:                             ;   in Loop: Header=BB3_1031 Depth=2
	s_cmp_gt_u32 s25, 7
	s_cbranch_scc1 .LBB3_1066
; %bb.1063:                             ;   in Loop: Header=BB3_1031 Depth=2
	s_cmp_eq_u32 s25, 0
	s_cbranch_scc1 .LBB3_1067
; %bb.1064:                             ;   in Loop: Header=BB3_1031 Depth=2
	s_mov_b64 s[20:21], 0
	v_pk_mov_b32 v[20:21], 0, 0
	s_mov_b64 s[22:23], 0
.LBB3_1065:                             ;   Parent Loop BB3_5 Depth=1
                                        ;     Parent Loop BB3_1031 Depth=2
                                        ; =>    This Inner Loop Header: Depth=3
	s_add_u32 s26, s0, s22
	s_addc_u32 s27, s1, s23
	global_load_ubyte v1, v35, s[26:27]
	s_add_u32 s22, s22, 1
	s_addc_u32 s23, s23, 0
	s_waitcnt vmcnt(0)
	v_and_b32_e32 v34, 0xffff, v1
	v_lshlrev_b64 v[4:5], s20, v[34:35]
	s_add_u32 s20, s20, 8
	s_addc_u32 s21, s21, 0
	v_or_b32_e32 v20, v4, v20
	s_cmp_lg_u32 s25, s22
	v_or_b32_e32 v21, v5, v21
	s_cbranch_scc1 .LBB3_1065
	s_branch .LBB3_1068
.LBB3_1066:                             ;   in Loop: Header=BB3_1031 Depth=2
                                        ; implicit-def: $sgpr24
	s_branch .LBB3_1069
.LBB3_1067:                             ;   in Loop: Header=BB3_1031 Depth=2
	v_pk_mov_b32 v[20:21], 0, 0
.LBB3_1068:                             ;   in Loop: Header=BB3_1031 Depth=2
	s_mov_b32 s24, 0
	s_cbranch_execnz .LBB3_1070
.LBB3_1069:                             ;   in Loop: Header=BB3_1031 Depth=2
	global_load_dwordx2 v[20:21], v35, s[0:1]
	s_add_i32 s24, s25, -8
	s_add_u32 s0, s0, 8
	s_addc_u32 s1, s1, 0
.LBB3_1070:                             ;   in Loop: Header=BB3_1031 Depth=2
	s_cmp_gt_u32 s24, 7
	s_cbranch_scc1 .LBB3_1074
; %bb.1071:                             ;   in Loop: Header=BB3_1031 Depth=2
	s_cmp_eq_u32 s24, 0
	s_cbranch_scc1 .LBB3_1075
; %bb.1072:                             ;   in Loop: Header=BB3_1031 Depth=2
	s_mov_b64 s[20:21], 0
	v_pk_mov_b32 v[22:23], 0, 0
	s_mov_b64 s[22:23], 0
.LBB3_1073:                             ;   Parent Loop BB3_5 Depth=1
                                        ;     Parent Loop BB3_1031 Depth=2
                                        ; =>    This Inner Loop Header: Depth=3
	s_add_u32 s26, s0, s22
	s_addc_u32 s27, s1, s23
	global_load_ubyte v1, v35, s[26:27]
	s_add_u32 s22, s22, 1
	s_addc_u32 s23, s23, 0
	s_waitcnt vmcnt(0)
	v_and_b32_e32 v34, 0xffff, v1
	v_lshlrev_b64 v[4:5], s20, v[34:35]
	s_add_u32 s20, s20, 8
	s_addc_u32 s21, s21, 0
	v_or_b32_e32 v22, v4, v22
	s_cmp_lg_u32 s24, s22
	v_or_b32_e32 v23, v5, v23
	s_cbranch_scc1 .LBB3_1073
	s_branch .LBB3_1076
.LBB3_1074:                             ;   in Loop: Header=BB3_1031 Depth=2
                                        ; implicit-def: $vgpr22_vgpr23
                                        ; implicit-def: $sgpr25
	s_branch .LBB3_1077
.LBB3_1075:                             ;   in Loop: Header=BB3_1031 Depth=2
	v_pk_mov_b32 v[22:23], 0, 0
.LBB3_1076:                             ;   in Loop: Header=BB3_1031 Depth=2
	s_mov_b32 s25, 0
	s_cbranch_execnz .LBB3_1078
.LBB3_1077:                             ;   in Loop: Header=BB3_1031 Depth=2
	global_load_dwordx2 v[22:23], v35, s[0:1]
	s_add_i32 s25, s24, -8
	s_add_u32 s0, s0, 8
	s_addc_u32 s1, s1, 0
.LBB3_1078:                             ;   in Loop: Header=BB3_1031 Depth=2
	s_cmp_gt_u32 s25, 7
	s_cbranch_scc1 .LBB3_1082
; %bb.1079:                             ;   in Loop: Header=BB3_1031 Depth=2
	s_cmp_eq_u32 s25, 0
	s_cbranch_scc1 .LBB3_1083
; %bb.1080:                             ;   in Loop: Header=BB3_1031 Depth=2
	s_mov_b64 s[20:21], 0
	v_pk_mov_b32 v[24:25], 0, 0
	s_mov_b64 s[22:23], s[0:1]
.LBB3_1081:                             ;   Parent Loop BB3_5 Depth=1
                                        ;     Parent Loop BB3_1031 Depth=2
                                        ; =>    This Inner Loop Header: Depth=3
	global_load_ubyte v1, v35, s[22:23]
	s_add_i32 s25, s25, -1
	s_waitcnt vmcnt(0)
	v_and_b32_e32 v34, 0xffff, v1
	v_lshlrev_b64 v[4:5], s20, v[34:35]
	s_add_u32 s20, s20, 8
	s_addc_u32 s21, s21, 0
	s_add_u32 s22, s22, 1
	s_addc_u32 s23, s23, 0
	v_or_b32_e32 v24, v4, v24
	s_cmp_lg_u32 s25, 0
	v_or_b32_e32 v25, v5, v25
	s_cbranch_scc1 .LBB3_1081
	s_branch .LBB3_1084
.LBB3_1082:                             ;   in Loop: Header=BB3_1031 Depth=2
	s_branch .LBB3_1085
.LBB3_1083:                             ;   in Loop: Header=BB3_1031 Depth=2
	v_pk_mov_b32 v[24:25], 0, 0
.LBB3_1084:                             ;   in Loop: Header=BB3_1031 Depth=2
	s_cbranch_execnz .LBB3_1086
.LBB3_1085:                             ;   in Loop: Header=BB3_1031 Depth=2
	global_load_dwordx2 v[24:25], v35, s[0:1]
.LBB3_1086:                             ;   in Loop: Header=BB3_1031 Depth=2
	v_readfirstlane_b32 s0, v32
	v_cmp_eq_u32_e64 s[0:1], s0, v32
	v_pk_mov_b32 v[4:5], 0, 0
	s_and_saveexec_b64 s[20:21], s[0:1]
	s_cbranch_execz .LBB3_1092
; %bb.1087:                             ;   in Loop: Header=BB3_1031 Depth=2
	global_load_dwordx2 v[28:29], v35, s[2:3] offset:24 glc
	s_waitcnt vmcnt(0)
	buffer_invl2
	buffer_wbinvl1_vol
	global_load_dwordx2 v[4:5], v35, s[2:3] offset:40
	global_load_dwordx2 v[26:27], v35, s[2:3]
	s_waitcnt vmcnt(1)
	v_and_b32_e32 v1, v4, v28
	v_and_b32_e32 v2, v5, v29
	v_mul_lo_u32 v2, v2, 24
	v_mul_hi_u32 v4, v1, 24
	v_mul_lo_u32 v1, v1, 24
	v_add_u32_e32 v2, v4, v2
	s_waitcnt vmcnt(0)
	v_add_co_u32_e32 v4, vcc, v26, v1
	v_addc_co_u32_e32 v5, vcc, v27, v2, vcc
	global_load_dwordx2 v[26:27], v[4:5], off glc
	s_waitcnt vmcnt(0)
	global_atomic_cmpswap_x2 v[4:5], v35, v[26:29], s[2:3] offset:24 glc
	s_waitcnt vmcnt(0)
	buffer_invl2
	buffer_wbinvl1_vol
	v_cmp_ne_u64_e32 vcc, v[4:5], v[28:29]
	s_and_saveexec_b64 s[22:23], vcc
	s_cbranch_execz .LBB3_1091
; %bb.1088:                             ;   in Loop: Header=BB3_1031 Depth=2
	s_mov_b64 s[24:25], 0
.LBB3_1089:                             ;   Parent Loop BB3_5 Depth=1
                                        ;     Parent Loop BB3_1031 Depth=2
                                        ; =>    This Inner Loop Header: Depth=3
	s_sleep 1
	global_load_dwordx2 v[26:27], v35, s[2:3] offset:40
	global_load_dwordx2 v[44:45], v35, s[2:3]
	v_pk_mov_b32 v[28:29], v[4:5], v[4:5] op_sel:[0,1]
	s_waitcnt vmcnt(1)
	v_and_b32_e32 v2, v26, v28
	s_waitcnt vmcnt(0)
	v_mad_u64_u32 v[4:5], s[26:27], v2, 24, v[44:45]
	v_and_b32_e32 v1, v27, v29
	v_mov_b32_e32 v2, v5
	v_mad_u64_u32 v[26:27], s[26:27], v1, 24, v[2:3]
	v_mov_b32_e32 v5, v26
	global_load_dwordx2 v[26:27], v[4:5], off glc
	s_waitcnt vmcnt(0)
	global_atomic_cmpswap_x2 v[4:5], v35, v[26:29], s[2:3] offset:24 glc
	s_waitcnt vmcnt(0)
	buffer_invl2
	buffer_wbinvl1_vol
	v_cmp_eq_u64_e32 vcc, v[4:5], v[28:29]
	s_or_b64 s[24:25], vcc, s[24:25]
	s_andn2_b64 exec, exec, s[24:25]
	s_cbranch_execnz .LBB3_1089
; %bb.1090:                             ;   in Loop: Header=BB3_1031 Depth=2
	s_or_b64 exec, exec, s[24:25]
.LBB3_1091:                             ;   in Loop: Header=BB3_1031 Depth=2
	s_or_b64 exec, exec, s[22:23]
.LBB3_1092:                             ;   in Loop: Header=BB3_1031 Depth=2
	s_or_b64 exec, exec, s[20:21]
	global_load_dwordx2 v[44:45], v35, s[2:3] offset:40
	global_load_dwordx4 v[26:29], v35, s[2:3]
	v_readfirstlane_b32 s20, v4
	v_readfirstlane_b32 s21, v5
	s_mov_b64 s[22:23], exec
	s_waitcnt vmcnt(1)
	v_readfirstlane_b32 s24, v44
	v_readfirstlane_b32 s25, v45
	s_and_b64 s[24:25], s[20:21], s[24:25]
	s_mul_i32 s26, s25, 24
	s_mul_hi_u32 s27, s24, 24
	s_mul_i32 s33, s24, 24
	s_add_i32 s26, s27, s26
	v_mov_b32_e32 v1, s26
	s_waitcnt vmcnt(0)
	v_add_co_u32_e32 v44, vcc, s33, v26
	v_addc_co_u32_e32 v45, vcc, v27, v1, vcc
	s_and_saveexec_b64 s[26:27], s[0:1]
	s_cbranch_execz .LBB3_1094
; %bb.1093:                             ;   in Loop: Header=BB3_1031 Depth=2
	v_pk_mov_b32 v[4:5], s[22:23], s[22:23] op_sel:[0,1]
	global_store_dwordx4 v[44:45], v[4:7], off offset:8
.LBB3_1094:                             ;   in Loop: Header=BB3_1031 Depth=2
	s_or_b64 exec, exec, s[26:27]
	s_lshl_b64 s[22:23], s[24:25], 12
	v_mov_b32_e32 v1, s23
	v_add_co_u32_e32 v4, vcc, s22, v28
	v_addc_co_u32_e32 v1, vcc, v29, v1, vcc
	v_or_b32_e32 v2, 0, v11
	v_or_b32_e32 v5, v10, v42
	v_cmp_gt_u64_e64 vcc, s[16:17], 56
	s_lshl_b32 s22, s18, 2
	v_cndmask_b32_e32 v11, v2, v11, vcc
	v_cndmask_b32_e32 v2, v5, v10, vcc
	s_add_i32 s22, s22, 28
	s_and_b32 s22, s22, 0x1e0
	v_and_b32_e32 v2, 0xffffff1f, v2
	v_or_b32_e32 v10, s22, v2
	v_readfirstlane_b32 s22, v4
	v_readfirstlane_b32 s23, v1
	s_nop 4
	global_store_dwordx4 v46, v[10:13], s[22:23]
	global_store_dwordx4 v46, v[14:17], s[22:23] offset:16
	global_store_dwordx4 v46, v[18:21], s[22:23] offset:32
	global_store_dwordx4 v46, v[22:25], s[22:23] offset:48
	s_and_saveexec_b64 s[22:23], s[0:1]
	s_cbranch_execz .LBB3_1102
; %bb.1095:                             ;   in Loop: Header=BB3_1031 Depth=2
	global_load_dwordx2 v[18:19], v35, s[2:3] offset:32 glc
	global_load_dwordx2 v[10:11], v35, s[2:3] offset:40
	v_mov_b32_e32 v16, s20
	v_mov_b32_e32 v17, s21
	s_waitcnt vmcnt(0)
	v_readfirstlane_b32 s24, v10
	v_readfirstlane_b32 s25, v11
	s_and_b64 s[24:25], s[24:25], s[20:21]
	s_mul_i32 s25, s25, 24
	s_mul_hi_u32 s26, s24, 24
	s_mul_i32 s24, s24, 24
	s_add_i32 s25, s26, s25
	v_mov_b32_e32 v2, s25
	v_add_co_u32_e32 v14, vcc, s24, v26
	v_addc_co_u32_e32 v15, vcc, v27, v2, vcc
	global_store_dwordx2 v[14:15], v[18:19], off
	buffer_wbl2
	s_waitcnt vmcnt(0)
	global_atomic_cmpswap_x2 v[12:13], v35, v[16:19], s[2:3] offset:32 glc
	s_waitcnt vmcnt(0)
	v_cmp_ne_u64_e32 vcc, v[12:13], v[18:19]
	s_and_saveexec_b64 s[24:25], vcc
	s_cbranch_execz .LBB3_1098
; %bb.1096:                             ;   in Loop: Header=BB3_1031 Depth=2
	s_mov_b64 s[26:27], 0
.LBB3_1097:                             ;   Parent Loop BB3_5 Depth=1
                                        ;     Parent Loop BB3_1031 Depth=2
                                        ; =>    This Inner Loop Header: Depth=3
	s_sleep 1
	global_store_dwordx2 v[14:15], v[12:13], off
	v_mov_b32_e32 v10, s20
	v_mov_b32_e32 v11, s21
	buffer_wbl2
	s_waitcnt vmcnt(0)
	global_atomic_cmpswap_x2 v[10:11], v35, v[10:13], s[2:3] offset:32 glc
	s_waitcnt vmcnt(0)
	v_cmp_eq_u64_e32 vcc, v[10:11], v[12:13]
	s_or_b64 s[26:27], vcc, s[26:27]
	v_pk_mov_b32 v[12:13], v[10:11], v[10:11] op_sel:[0,1]
	s_andn2_b64 exec, exec, s[26:27]
	s_cbranch_execnz .LBB3_1097
.LBB3_1098:                             ;   in Loop: Header=BB3_1031 Depth=2
	s_or_b64 exec, exec, s[24:25]
	global_load_dwordx2 v[10:11], v35, s[2:3] offset:16
	s_mov_b64 s[26:27], exec
	v_mbcnt_lo_u32_b32 v2, s26, 0
	v_mbcnt_hi_u32_b32 v2, s27, v2
	v_cmp_eq_u32_e32 vcc, 0, v2
	s_and_saveexec_b64 s[24:25], vcc
	s_cbranch_execz .LBB3_1100
; %bb.1099:                             ;   in Loop: Header=BB3_1031 Depth=2
	s_bcnt1_i32_b64 s26, s[26:27]
	v_mov_b32_e32 v2, s26
	buffer_wbl2
	s_waitcnt vmcnt(0)
	global_atomic_add_x2 v[10:11], v[2:3], off offset:8
.LBB3_1100:                             ;   in Loop: Header=BB3_1031 Depth=2
	s_or_b64 exec, exec, s[24:25]
	s_waitcnt vmcnt(0)
	global_load_dwordx2 v[12:13], v[10:11], off offset:16
	s_waitcnt vmcnt(0)
	v_cmp_eq_u64_e32 vcc, 0, v[12:13]
	s_cbranch_vccnz .LBB3_1102
; %bb.1101:                             ;   in Loop: Header=BB3_1031 Depth=2
	global_load_dword v34, v[10:11], off offset:24
	s_waitcnt vmcnt(0)
	v_and_b32_e32 v2, 0xffffff, v34
	v_readfirstlane_b32 m0, v2
	buffer_wbl2
	global_store_dwordx2 v[12:13], v[34:35], off
	s_sendmsg sendmsg(MSG_INTERRUPT)
.LBB3_1102:                             ;   in Loop: Header=BB3_1031 Depth=2
	s_or_b64 exec, exec, s[22:23]
	v_add_co_u32_e32 v4, vcc, v4, v46
	v_addc_co_u32_e32 v5, vcc, 0, v1, vcc
	s_branch .LBB3_1106
.LBB3_1103:                             ;   in Loop: Header=BB3_1106 Depth=3
	s_or_b64 exec, exec, s[22:23]
	v_readfirstlane_b32 s22, v1
	s_cmp_eq_u32 s22, 0
	s_cbranch_scc1 .LBB3_1105
; %bb.1104:                             ;   in Loop: Header=BB3_1106 Depth=3
	s_sleep 1
	s_cbranch_execnz .LBB3_1106
	s_branch .LBB3_1108
.LBB3_1105:                             ;   in Loop: Header=BB3_1031 Depth=2
	s_branch .LBB3_1108
.LBB3_1106:                             ;   Parent Loop BB3_5 Depth=1
                                        ;     Parent Loop BB3_1031 Depth=2
                                        ; =>    This Inner Loop Header: Depth=3
	v_mov_b32_e32 v1, 1
	s_and_saveexec_b64 s[22:23], s[0:1]
	s_cbranch_execz .LBB3_1103
; %bb.1107:                             ;   in Loop: Header=BB3_1106 Depth=3
	global_load_dword v1, v[44:45], off offset:20 glc
	s_waitcnt vmcnt(0)
	buffer_invl2
	buffer_wbinvl1_vol
	v_and_b32_e32 v1, 1, v1
	s_branch .LBB3_1103
.LBB3_1108:                             ;   in Loop: Header=BB3_1031 Depth=2
	global_load_dwordx4 v[10:13], v[4:5], off
	s_and_saveexec_b64 s[22:23], s[0:1]
	s_cbranch_execz .LBB3_1030
; %bb.1109:                             ;   in Loop: Header=BB3_1031 Depth=2
	global_load_dwordx2 v[4:5], v35, s[2:3] offset:40
	global_load_dwordx2 v[16:17], v35, s[2:3] offset:24 glc
	global_load_dwordx2 v[18:19], v35, s[2:3]
	v_mov_b32_e32 v1, s21
	s_waitcnt vmcnt(2)
	v_add_co_u32_e32 v2, vcc, 1, v4
	v_addc_co_u32_e32 v15, vcc, 0, v5, vcc
	v_add_co_u32_e32 v12, vcc, s20, v2
	v_addc_co_u32_e32 v13, vcc, v15, v1, vcc
	v_cmp_eq_u64_e32 vcc, 0, v[12:13]
	v_cndmask_b32_e32 v13, v13, v15, vcc
	v_cndmask_b32_e32 v12, v12, v2, vcc
	v_and_b32_e32 v1, v13, v5
	v_and_b32_e32 v2, v12, v4
	v_mul_lo_u32 v1, v1, 24
	v_mul_hi_u32 v4, v2, 24
	v_mul_lo_u32 v2, v2, 24
	v_add_u32_e32 v1, v4, v1
	s_waitcnt vmcnt(0)
	v_add_co_u32_e32 v4, vcc, v18, v2
	v_addc_co_u32_e32 v5, vcc, v19, v1, vcc
	v_mov_b32_e32 v14, v16
	global_store_dwordx2 v[4:5], v[16:17], off
	v_mov_b32_e32 v15, v17
	buffer_wbl2
	s_waitcnt vmcnt(0)
	global_atomic_cmpswap_x2 v[14:15], v35, v[12:15], s[2:3] offset:24 glc
	s_waitcnt vmcnt(0)
	v_cmp_ne_u64_e32 vcc, v[14:15], v[16:17]
	s_and_b64 exec, exec, vcc
	s_cbranch_execz .LBB3_1030
; %bb.1110:                             ;   in Loop: Header=BB3_1031 Depth=2
	s_mov_b64 s[0:1], 0
.LBB3_1111:                             ;   Parent Loop BB3_5 Depth=1
                                        ;     Parent Loop BB3_1031 Depth=2
                                        ; =>    This Inner Loop Header: Depth=3
	s_sleep 1
	global_store_dwordx2 v[4:5], v[14:15], off
	buffer_wbl2
	s_waitcnt vmcnt(0)
	global_atomic_cmpswap_x2 v[16:17], v35, v[12:15], s[2:3] offset:24 glc
	s_waitcnt vmcnt(0)
	v_cmp_eq_u64_e32 vcc, v[16:17], v[14:15]
	s_or_b64 s[0:1], vcc, s[0:1]
	v_pk_mov_b32 v[14:15], v[16:17], v[16:17] op_sel:[0,1]
	s_andn2_b64 exec, exec, s[0:1]
	s_cbranch_execnz .LBB3_1111
	s_branch .LBB3_1030
.LBB3_1112:                             ;   in Loop: Header=BB3_5 Depth=1
	s_branch .LBB3_1169
.LBB3_1113:                             ;   in Loop: Header=BB3_5 Depth=1
                                        ; implicit-def: $vgpr8_vgpr9
	s_cbranch_execz .LBB3_1028
; %bb.1114:                             ;   in Loop: Header=BB3_5 Depth=1
	v_readfirstlane_b32 s0, v32
	v_cmp_eq_u32_e64 s[0:1], s0, v32
	v_pk_mov_b32 v[4:5], 0, 0
	s_and_saveexec_b64 s[14:15], s[0:1]
	s_cbranch_execz .LBB3_1120
; %bb.1115:                             ;   in Loop: Header=BB3_5 Depth=1
	global_load_dwordx2 v[10:11], v35, s[2:3] offset:24 glc
	s_waitcnt vmcnt(0)
	buffer_invl2
	buffer_wbinvl1_vol
	global_load_dwordx2 v[4:5], v35, s[2:3] offset:40
	global_load_dwordx2 v[8:9], v35, s[2:3]
	s_waitcnt vmcnt(1)
	v_and_b32_e32 v1, v4, v10
	v_and_b32_e32 v2, v5, v11
	v_mul_lo_u32 v2, v2, 24
	v_mul_hi_u32 v4, v1, 24
	v_mul_lo_u32 v1, v1, 24
	v_add_u32_e32 v2, v4, v2
	s_waitcnt vmcnt(0)
	v_add_co_u32_e32 v4, vcc, v8, v1
	v_addc_co_u32_e32 v5, vcc, v9, v2, vcc
	global_load_dwordx2 v[8:9], v[4:5], off glc
	s_waitcnt vmcnt(0)
	global_atomic_cmpswap_x2 v[4:5], v35, v[8:11], s[2:3] offset:24 glc
	s_waitcnt vmcnt(0)
	buffer_invl2
	buffer_wbinvl1_vol
	v_cmp_ne_u64_e32 vcc, v[4:5], v[10:11]
	s_and_saveexec_b64 s[16:17], vcc
	s_cbranch_execz .LBB3_1119
; %bb.1116:                             ;   in Loop: Header=BB3_5 Depth=1
	s_mov_b64 s[18:19], 0
.LBB3_1117:                             ;   Parent Loop BB3_5 Depth=1
                                        ; =>  This Inner Loop Header: Depth=2
	s_sleep 1
	global_load_dwordx2 v[8:9], v35, s[2:3] offset:40
	global_load_dwordx2 v[14:15], v35, s[2:3]
	v_pk_mov_b32 v[10:11], v[4:5], v[4:5] op_sel:[0,1]
	s_waitcnt vmcnt(1)
	v_and_b32_e32 v2, v8, v10
	s_waitcnt vmcnt(0)
	v_mad_u64_u32 v[4:5], s[20:21], v2, 24, v[14:15]
	v_and_b32_e32 v1, v9, v11
	v_mov_b32_e32 v2, v5
	v_mad_u64_u32 v[8:9], s[20:21], v1, 24, v[2:3]
	v_mov_b32_e32 v5, v8
	global_load_dwordx2 v[8:9], v[4:5], off glc
	s_waitcnt vmcnt(0)
	global_atomic_cmpswap_x2 v[4:5], v35, v[8:11], s[2:3] offset:24 glc
	s_waitcnt vmcnt(0)
	buffer_invl2
	buffer_wbinvl1_vol
	v_cmp_eq_u64_e32 vcc, v[4:5], v[10:11]
	s_or_b64 s[18:19], vcc, s[18:19]
	s_andn2_b64 exec, exec, s[18:19]
	s_cbranch_execnz .LBB3_1117
; %bb.1118:                             ;   in Loop: Header=BB3_5 Depth=1
	s_or_b64 exec, exec, s[18:19]
.LBB3_1119:                             ;   in Loop: Header=BB3_5 Depth=1
	s_or_b64 exec, exec, s[16:17]
.LBB3_1120:                             ;   in Loop: Header=BB3_5 Depth=1
	s_or_b64 exec, exec, s[14:15]
	global_load_dwordx2 v[14:15], v35, s[2:3] offset:40
	global_load_dwordx4 v[8:11], v35, s[2:3]
	v_readfirstlane_b32 s14, v4
	v_readfirstlane_b32 s15, v5
	s_mov_b64 s[16:17], exec
	s_waitcnt vmcnt(1)
	v_readfirstlane_b32 s18, v14
	v_readfirstlane_b32 s19, v15
	s_and_b64 s[18:19], s[14:15], s[18:19]
	s_mul_i32 s20, s19, 24
	s_mul_hi_u32 s21, s18, 24
	s_mul_i32 s22, s18, 24
	s_add_i32 s20, s21, s20
	v_mov_b32_e32 v1, s20
	s_waitcnt vmcnt(0)
	v_add_co_u32_e32 v16, vcc, s22, v8
	v_addc_co_u32_e32 v17, vcc, v9, v1, vcc
	s_and_saveexec_b64 s[20:21], s[0:1]
	s_cbranch_execz .LBB3_1122
; %bb.1121:                             ;   in Loop: Header=BB3_5 Depth=1
	v_pk_mov_b32 v[4:5], s[16:17], s[16:17] op_sel:[0,1]
	global_store_dwordx4 v[16:17], v[4:7], off offset:8
.LBB3_1122:                             ;   in Loop: Header=BB3_5 Depth=1
	s_or_b64 exec, exec, s[20:21]
	s_lshl_b64 s[16:17], s[18:19], 12
	v_mov_b32_e32 v1, s17
	v_add_co_u32_e32 v4, vcc, s16, v10
	v_addc_co_u32_e32 v1, vcc, v11, v1, vcc
	v_and_or_b32 v12, v12, s29, 32
	v_mov_b32_e32 v14, v3
	v_mov_b32_e32 v15, v3
	v_readfirstlane_b32 s16, v4
	v_readfirstlane_b32 s17, v1
	s_nop 4
	global_store_dwordx4 v46, v[12:15], s[16:17]
	s_nop 0
	v_pk_mov_b32 v[12:13], s[10:11], s[10:11] op_sel:[0,1]
	v_pk_mov_b32 v[10:11], s[8:9], s[8:9] op_sel:[0,1]
	global_store_dwordx4 v46, v[10:13], s[16:17] offset:16
	global_store_dwordx4 v46, v[10:13], s[16:17] offset:32
	;; [unrolled: 1-line block ×3, first 2 shown]
	s_and_saveexec_b64 s[16:17], s[0:1]
	s_cbranch_execz .LBB3_1130
; %bb.1123:                             ;   in Loop: Header=BB3_5 Depth=1
	global_load_dwordx2 v[20:21], v35, s[2:3] offset:32 glc
	global_load_dwordx2 v[10:11], v35, s[2:3] offset:40
	v_mov_b32_e32 v18, s14
	v_mov_b32_e32 v19, s15
	s_waitcnt vmcnt(0)
	v_readfirstlane_b32 s18, v10
	v_readfirstlane_b32 s19, v11
	s_and_b64 s[18:19], s[18:19], s[14:15]
	s_mul_i32 s19, s19, 24
	s_mul_hi_u32 s20, s18, 24
	s_mul_i32 s18, s18, 24
	s_add_i32 s19, s20, s19
	v_mov_b32_e32 v2, s19
	v_add_co_u32_e32 v12, vcc, s18, v8
	v_addc_co_u32_e32 v13, vcc, v9, v2, vcc
	global_store_dwordx2 v[12:13], v[20:21], off
	buffer_wbl2
	s_waitcnt vmcnt(0)
	global_atomic_cmpswap_x2 v[10:11], v35, v[18:21], s[2:3] offset:32 glc
	s_waitcnt vmcnt(0)
	v_cmp_ne_u64_e32 vcc, v[10:11], v[20:21]
	s_and_saveexec_b64 s[18:19], vcc
	s_cbranch_execz .LBB3_1126
; %bb.1124:                             ;   in Loop: Header=BB3_5 Depth=1
	s_mov_b64 s[20:21], 0
.LBB3_1125:                             ;   Parent Loop BB3_5 Depth=1
                                        ; =>  This Inner Loop Header: Depth=2
	s_sleep 1
	global_store_dwordx2 v[12:13], v[10:11], off
	v_mov_b32_e32 v8, s14
	v_mov_b32_e32 v9, s15
	buffer_wbl2
	s_waitcnt vmcnt(0)
	global_atomic_cmpswap_x2 v[8:9], v35, v[8:11], s[2:3] offset:32 glc
	s_waitcnt vmcnt(0)
	v_cmp_eq_u64_e32 vcc, v[8:9], v[10:11]
	s_or_b64 s[20:21], vcc, s[20:21]
	v_pk_mov_b32 v[10:11], v[8:9], v[8:9] op_sel:[0,1]
	s_andn2_b64 exec, exec, s[20:21]
	s_cbranch_execnz .LBB3_1125
.LBB3_1126:                             ;   in Loop: Header=BB3_5 Depth=1
	s_or_b64 exec, exec, s[18:19]
	global_load_dwordx2 v[8:9], v35, s[2:3] offset:16
	s_mov_b64 s[20:21], exec
	v_mbcnt_lo_u32_b32 v2, s20, 0
	v_mbcnt_hi_u32_b32 v2, s21, v2
	v_cmp_eq_u32_e32 vcc, 0, v2
	s_and_saveexec_b64 s[18:19], vcc
	s_cbranch_execz .LBB3_1128
; %bb.1127:                             ;   in Loop: Header=BB3_5 Depth=1
	s_bcnt1_i32_b64 s20, s[20:21]
	v_mov_b32_e32 v2, s20
	buffer_wbl2
	s_waitcnt vmcnt(0)
	global_atomic_add_x2 v[8:9], v[2:3], off offset:8
.LBB3_1128:                             ;   in Loop: Header=BB3_5 Depth=1
	s_or_b64 exec, exec, s[18:19]
	s_waitcnt vmcnt(0)
	global_load_dwordx2 v[10:11], v[8:9], off offset:16
	s_waitcnt vmcnt(0)
	v_cmp_eq_u64_e32 vcc, 0, v[10:11]
	s_cbranch_vccnz .LBB3_1130
; %bb.1129:                             ;   in Loop: Header=BB3_5 Depth=1
	global_load_dword v34, v[8:9], off offset:24
	s_waitcnt vmcnt(0)
	v_and_b32_e32 v2, 0xffffff, v34
	v_readfirstlane_b32 m0, v2
	buffer_wbl2
	global_store_dwordx2 v[10:11], v[34:35], off
	s_sendmsg sendmsg(MSG_INTERRUPT)
.LBB3_1130:                             ;   in Loop: Header=BB3_5 Depth=1
	s_or_b64 exec, exec, s[16:17]
	v_add_co_u32_e32 v4, vcc, v4, v46
	v_addc_co_u32_e32 v5, vcc, 0, v1, vcc
	s_branch .LBB3_1134
.LBB3_1131:                             ;   in Loop: Header=BB3_1134 Depth=2
	s_or_b64 exec, exec, s[16:17]
	v_readfirstlane_b32 s16, v1
	s_cmp_eq_u32 s16, 0
	s_cbranch_scc1 .LBB3_1133
; %bb.1132:                             ;   in Loop: Header=BB3_1134 Depth=2
	s_sleep 1
	s_cbranch_execnz .LBB3_1134
	s_branch .LBB3_1136
.LBB3_1133:                             ;   in Loop: Header=BB3_5 Depth=1
	s_branch .LBB3_1136
.LBB3_1134:                             ;   Parent Loop BB3_5 Depth=1
                                        ; =>  This Inner Loop Header: Depth=2
	v_mov_b32_e32 v1, 1
	s_and_saveexec_b64 s[16:17], s[0:1]
	s_cbranch_execz .LBB3_1131
; %bb.1135:                             ;   in Loop: Header=BB3_1134 Depth=2
	global_load_dword v1, v[16:17], off offset:20 glc
	s_waitcnt vmcnt(0)
	buffer_invl2
	buffer_wbinvl1_vol
	v_and_b32_e32 v1, 1, v1
	s_branch .LBB3_1131
.LBB3_1136:                             ;   in Loop: Header=BB3_5 Depth=1
	global_load_dwordx2 v[8:9], v[4:5], off
	s_and_saveexec_b64 s[16:17], s[0:1]
	s_cbranch_execz .LBB3_1140
; %bb.1137:                             ;   in Loop: Header=BB3_5 Depth=1
	global_load_dwordx2 v[4:5], v35, s[2:3] offset:40
	global_load_dwordx2 v[14:15], v35, s[2:3] offset:24 glc
	global_load_dwordx2 v[16:17], v35, s[2:3]
	v_mov_b32_e32 v1, s15
	s_waitcnt vmcnt(2)
	v_add_co_u32_e32 v2, vcc, 1, v4
	v_addc_co_u32_e32 v13, vcc, 0, v5, vcc
	v_add_co_u32_e32 v10, vcc, s14, v2
	v_addc_co_u32_e32 v11, vcc, v13, v1, vcc
	v_cmp_eq_u64_e32 vcc, 0, v[10:11]
	v_cndmask_b32_e32 v11, v11, v13, vcc
	v_cndmask_b32_e32 v10, v10, v2, vcc
	v_and_b32_e32 v1, v11, v5
	v_and_b32_e32 v2, v10, v4
	v_mul_lo_u32 v1, v1, 24
	v_mul_hi_u32 v4, v2, 24
	v_mul_lo_u32 v2, v2, 24
	v_add_u32_e32 v1, v4, v1
	s_waitcnt vmcnt(0)
	v_add_co_u32_e32 v4, vcc, v16, v2
	v_addc_co_u32_e32 v5, vcc, v17, v1, vcc
	v_mov_b32_e32 v12, v14
	global_store_dwordx2 v[4:5], v[14:15], off
	v_mov_b32_e32 v13, v15
	buffer_wbl2
	s_waitcnt vmcnt(0)
	global_atomic_cmpswap_x2 v[12:13], v35, v[10:13], s[2:3] offset:24 glc
	s_waitcnt vmcnt(0)
	v_cmp_ne_u64_e32 vcc, v[12:13], v[14:15]
	s_and_b64 exec, exec, vcc
	s_cbranch_execz .LBB3_1140
; %bb.1138:                             ;   in Loop: Header=BB3_5 Depth=1
	s_mov_b64 s[0:1], 0
.LBB3_1139:                             ;   Parent Loop BB3_5 Depth=1
                                        ; =>  This Inner Loop Header: Depth=2
	s_sleep 1
	global_store_dwordx2 v[4:5], v[12:13], off
	buffer_wbl2
	s_waitcnt vmcnt(0)
	global_atomic_cmpswap_x2 v[14:15], v35, v[10:13], s[2:3] offset:24 glc
	s_waitcnt vmcnt(0)
	v_cmp_eq_u64_e32 vcc, v[14:15], v[12:13]
	s_or_b64 s[0:1], vcc, s[0:1]
	v_pk_mov_b32 v[12:13], v[14:15], v[14:15] op_sel:[0,1]
	s_andn2_b64 exec, exec, s[0:1]
	s_cbranch_execnz .LBB3_1139
.LBB3_1140:                             ;   in Loop: Header=BB3_5 Depth=1
	s_or_b64 exec, exec, s[16:17]
	s_and_b64 vcc, exec, s[12:13]
	s_cbranch_vccnz .LBB3_1029
.LBB3_1141:                             ;   in Loop: Header=BB3_5 Depth=1
                                        ; implicit-def: $vgpr10_vgpr11
	s_cbranch_execz .LBB3_1169
; %bb.1142:                             ;   in Loop: Header=BB3_5 Depth=1
	v_readfirstlane_b32 s0, v32
	v_cmp_eq_u32_e64 s[0:1], s0, v32
	v_pk_mov_b32 v[4:5], 0, 0
	s_and_saveexec_b64 s[14:15], s[0:1]
	s_cbranch_execz .LBB3_1148
; %bb.1143:                             ;   in Loop: Header=BB3_5 Depth=1
	global_load_dwordx2 v[12:13], v35, s[2:3] offset:24 glc
	s_waitcnt vmcnt(0)
	buffer_invl2
	buffer_wbinvl1_vol
	global_load_dwordx2 v[4:5], v35, s[2:3] offset:40
	global_load_dwordx2 v[10:11], v35, s[2:3]
	s_waitcnt vmcnt(1)
	v_and_b32_e32 v1, v4, v12
	v_and_b32_e32 v2, v5, v13
	v_mul_lo_u32 v2, v2, 24
	v_mul_hi_u32 v4, v1, 24
	v_mul_lo_u32 v1, v1, 24
	v_add_u32_e32 v2, v4, v2
	s_waitcnt vmcnt(0)
	v_add_co_u32_e32 v4, vcc, v10, v1
	v_addc_co_u32_e32 v5, vcc, v11, v2, vcc
	global_load_dwordx2 v[10:11], v[4:5], off glc
	s_waitcnt vmcnt(0)
	global_atomic_cmpswap_x2 v[4:5], v35, v[10:13], s[2:3] offset:24 glc
	s_waitcnt vmcnt(0)
	buffer_invl2
	buffer_wbinvl1_vol
	v_cmp_ne_u64_e32 vcc, v[4:5], v[12:13]
	s_and_saveexec_b64 s[16:17], vcc
	s_cbranch_execz .LBB3_1147
; %bb.1144:                             ;   in Loop: Header=BB3_5 Depth=1
	s_mov_b64 s[18:19], 0
.LBB3_1145:                             ;   Parent Loop BB3_5 Depth=1
                                        ; =>  This Inner Loop Header: Depth=2
	s_sleep 1
	global_load_dwordx2 v[10:11], v35, s[2:3] offset:40
	global_load_dwordx2 v[14:15], v35, s[2:3]
	v_pk_mov_b32 v[12:13], v[4:5], v[4:5] op_sel:[0,1]
	s_waitcnt vmcnt(1)
	v_and_b32_e32 v2, v10, v12
	s_waitcnt vmcnt(0)
	v_mad_u64_u32 v[4:5], s[20:21], v2, 24, v[14:15]
	v_and_b32_e32 v1, v11, v13
	v_mov_b32_e32 v2, v5
	v_mad_u64_u32 v[10:11], s[20:21], v1, 24, v[2:3]
	v_mov_b32_e32 v5, v10
	global_load_dwordx2 v[10:11], v[4:5], off glc
	s_waitcnt vmcnt(0)
	global_atomic_cmpswap_x2 v[4:5], v35, v[10:13], s[2:3] offset:24 glc
	s_waitcnt vmcnt(0)
	buffer_invl2
	buffer_wbinvl1_vol
	v_cmp_eq_u64_e32 vcc, v[4:5], v[12:13]
	s_or_b64 s[18:19], vcc, s[18:19]
	s_andn2_b64 exec, exec, s[18:19]
	s_cbranch_execnz .LBB3_1145
; %bb.1146:                             ;   in Loop: Header=BB3_5 Depth=1
	s_or_b64 exec, exec, s[18:19]
.LBB3_1147:                             ;   in Loop: Header=BB3_5 Depth=1
	s_or_b64 exec, exec, s[16:17]
.LBB3_1148:                             ;   in Loop: Header=BB3_5 Depth=1
	s_or_b64 exec, exec, s[14:15]
	global_load_dwordx2 v[10:11], v35, s[2:3] offset:40
	global_load_dwordx4 v[12:15], v35, s[2:3]
	v_readfirstlane_b32 s14, v4
	v_readfirstlane_b32 s15, v5
	s_mov_b64 s[16:17], exec
	s_waitcnt vmcnt(1)
	v_readfirstlane_b32 s18, v10
	v_readfirstlane_b32 s19, v11
	s_and_b64 s[18:19], s[14:15], s[18:19]
	s_mul_i32 s20, s19, 24
	s_mul_hi_u32 s21, s18, 24
	s_mul_i32 s22, s18, 24
	s_add_i32 s20, s21, s20
	v_mov_b32_e32 v1, s20
	s_waitcnt vmcnt(0)
	v_add_co_u32_e32 v16, vcc, s22, v12
	v_addc_co_u32_e32 v17, vcc, v13, v1, vcc
	s_and_saveexec_b64 s[20:21], s[0:1]
	s_cbranch_execz .LBB3_1150
; %bb.1149:                             ;   in Loop: Header=BB3_5 Depth=1
	v_pk_mov_b32 v[4:5], s[16:17], s[16:17] op_sel:[0,1]
	global_store_dwordx4 v[16:17], v[4:7], off offset:8
.LBB3_1150:                             ;   in Loop: Header=BB3_5 Depth=1
	s_or_b64 exec, exec, s[20:21]
	s_lshl_b64 s[16:17], s[18:19], 12
	v_mov_b32_e32 v1, s17
	v_add_co_u32_e32 v4, vcc, s16, v14
	v_addc_co_u32_e32 v1, vcc, v15, v1, vcc
	v_and_or_b32 v8, v8, s29, 32
	v_mov_b32_e32 v10, v3
	v_mov_b32_e32 v11, v3
	v_readfirstlane_b32 s16, v4
	v_readfirstlane_b32 s17, v1
	s_nop 4
	global_store_dwordx4 v46, v[8:11], s[16:17]
	s_nop 0
	v_pk_mov_b32 v[8:9], s[8:9], s[8:9] op_sel:[0,1]
	v_pk_mov_b32 v[10:11], s[10:11], s[10:11] op_sel:[0,1]
	global_store_dwordx4 v46, v[8:11], s[16:17] offset:16
	global_store_dwordx4 v46, v[8:11], s[16:17] offset:32
	;; [unrolled: 1-line block ×3, first 2 shown]
	s_and_saveexec_b64 s[16:17], s[0:1]
	s_cbranch_execz .LBB3_1158
; %bb.1151:                             ;   in Loop: Header=BB3_5 Depth=1
	global_load_dwordx2 v[20:21], v35, s[2:3] offset:32 glc
	global_load_dwordx2 v[8:9], v35, s[2:3] offset:40
	v_mov_b32_e32 v18, s14
	v_mov_b32_e32 v19, s15
	s_waitcnt vmcnt(0)
	v_readfirstlane_b32 s18, v8
	v_readfirstlane_b32 s19, v9
	s_and_b64 s[18:19], s[18:19], s[14:15]
	s_mul_i32 s19, s19, 24
	s_mul_hi_u32 s20, s18, 24
	s_mul_i32 s18, s18, 24
	s_add_i32 s19, s20, s19
	v_mov_b32_e32 v2, s19
	v_add_co_u32_e32 v12, vcc, s18, v12
	v_addc_co_u32_e32 v13, vcc, v13, v2, vcc
	global_store_dwordx2 v[12:13], v[20:21], off
	buffer_wbl2
	s_waitcnt vmcnt(0)
	global_atomic_cmpswap_x2 v[10:11], v35, v[18:21], s[2:3] offset:32 glc
	s_waitcnt vmcnt(0)
	v_cmp_ne_u64_e32 vcc, v[10:11], v[20:21]
	s_and_saveexec_b64 s[18:19], vcc
	s_cbranch_execz .LBB3_1154
; %bb.1152:                             ;   in Loop: Header=BB3_5 Depth=1
	s_mov_b64 s[20:21], 0
.LBB3_1153:                             ;   Parent Loop BB3_5 Depth=1
                                        ; =>  This Inner Loop Header: Depth=2
	s_sleep 1
	global_store_dwordx2 v[12:13], v[10:11], off
	v_mov_b32_e32 v8, s14
	v_mov_b32_e32 v9, s15
	buffer_wbl2
	s_waitcnt vmcnt(0)
	global_atomic_cmpswap_x2 v[8:9], v35, v[8:11], s[2:3] offset:32 glc
	s_waitcnt vmcnt(0)
	v_cmp_eq_u64_e32 vcc, v[8:9], v[10:11]
	s_or_b64 s[20:21], vcc, s[20:21]
	v_pk_mov_b32 v[10:11], v[8:9], v[8:9] op_sel:[0,1]
	s_andn2_b64 exec, exec, s[20:21]
	s_cbranch_execnz .LBB3_1153
.LBB3_1154:                             ;   in Loop: Header=BB3_5 Depth=1
	s_or_b64 exec, exec, s[18:19]
	global_load_dwordx2 v[8:9], v35, s[2:3] offset:16
	s_mov_b64 s[20:21], exec
	v_mbcnt_lo_u32_b32 v2, s20, 0
	v_mbcnt_hi_u32_b32 v2, s21, v2
	v_cmp_eq_u32_e32 vcc, 0, v2
	s_and_saveexec_b64 s[18:19], vcc
	s_cbranch_execz .LBB3_1156
; %bb.1155:                             ;   in Loop: Header=BB3_5 Depth=1
	s_bcnt1_i32_b64 s20, s[20:21]
	v_mov_b32_e32 v2, s20
	buffer_wbl2
	s_waitcnt vmcnt(0)
	global_atomic_add_x2 v[8:9], v[2:3], off offset:8
.LBB3_1156:                             ;   in Loop: Header=BB3_5 Depth=1
	s_or_b64 exec, exec, s[18:19]
	s_waitcnt vmcnt(0)
	global_load_dwordx2 v[10:11], v[8:9], off offset:16
	s_waitcnt vmcnt(0)
	v_cmp_eq_u64_e32 vcc, 0, v[10:11]
	s_cbranch_vccnz .LBB3_1158
; %bb.1157:                             ;   in Loop: Header=BB3_5 Depth=1
	global_load_dword v34, v[8:9], off offset:24
	s_waitcnt vmcnt(0)
	v_and_b32_e32 v2, 0xffffff, v34
	v_readfirstlane_b32 m0, v2
	buffer_wbl2
	global_store_dwordx2 v[10:11], v[34:35], off
	s_sendmsg sendmsg(MSG_INTERRUPT)
.LBB3_1158:                             ;   in Loop: Header=BB3_5 Depth=1
	s_or_b64 exec, exec, s[16:17]
	v_add_co_u32_e32 v4, vcc, v4, v46
	v_addc_co_u32_e32 v5, vcc, 0, v1, vcc
	s_branch .LBB3_1162
.LBB3_1159:                             ;   in Loop: Header=BB3_1162 Depth=2
	s_or_b64 exec, exec, s[16:17]
	v_readfirstlane_b32 s16, v1
	s_cmp_eq_u32 s16, 0
	s_cbranch_scc1 .LBB3_1161
; %bb.1160:                             ;   in Loop: Header=BB3_1162 Depth=2
	s_sleep 1
	s_cbranch_execnz .LBB3_1162
	s_branch .LBB3_1164
.LBB3_1161:                             ;   in Loop: Header=BB3_5 Depth=1
	s_branch .LBB3_1164
.LBB3_1162:                             ;   Parent Loop BB3_5 Depth=1
                                        ; =>  This Inner Loop Header: Depth=2
	v_mov_b32_e32 v1, 1
	s_and_saveexec_b64 s[16:17], s[0:1]
	s_cbranch_execz .LBB3_1159
; %bb.1163:                             ;   in Loop: Header=BB3_1162 Depth=2
	global_load_dword v1, v[16:17], off offset:20 glc
	s_waitcnt vmcnt(0)
	buffer_invl2
	buffer_wbinvl1_vol
	v_and_b32_e32 v1, 1, v1
	s_branch .LBB3_1159
.LBB3_1164:                             ;   in Loop: Header=BB3_5 Depth=1
	global_load_dwordx2 v[10:11], v[4:5], off
	s_and_saveexec_b64 s[16:17], s[0:1]
	s_cbranch_execz .LBB3_1168
; %bb.1165:                             ;   in Loop: Header=BB3_5 Depth=1
	global_load_dwordx2 v[4:5], v35, s[2:3] offset:40
	global_load_dwordx2 v[8:9], v35, s[2:3] offset:24 glc
	global_load_dwordx2 v[16:17], v35, s[2:3]
	v_mov_b32_e32 v1, s15
	s_waitcnt vmcnt(2)
	v_add_co_u32_e32 v2, vcc, 1, v4
	v_addc_co_u32_e32 v15, vcc, 0, v5, vcc
	v_add_co_u32_e32 v12, vcc, s14, v2
	v_addc_co_u32_e32 v13, vcc, v15, v1, vcc
	v_cmp_eq_u64_e32 vcc, 0, v[12:13]
	v_cndmask_b32_e32 v13, v13, v15, vcc
	v_cndmask_b32_e32 v12, v12, v2, vcc
	v_and_b32_e32 v1, v13, v5
	v_and_b32_e32 v2, v12, v4
	v_mul_lo_u32 v1, v1, 24
	v_mul_hi_u32 v4, v2, 24
	v_mul_lo_u32 v2, v2, 24
	v_add_u32_e32 v1, v4, v1
	s_waitcnt vmcnt(0)
	v_add_co_u32_e32 v4, vcc, v16, v2
	v_addc_co_u32_e32 v5, vcc, v17, v1, vcc
	v_mov_b32_e32 v14, v8
	global_store_dwordx2 v[4:5], v[8:9], off
	v_mov_b32_e32 v15, v9
	buffer_wbl2
	s_waitcnt vmcnt(0)
	global_atomic_cmpswap_x2 v[14:15], v35, v[12:15], s[2:3] offset:24 glc
	s_waitcnt vmcnt(0)
	v_cmp_ne_u64_e32 vcc, v[14:15], v[8:9]
	s_and_b64 exec, exec, vcc
	s_cbranch_execz .LBB3_1168
; %bb.1166:                             ;   in Loop: Header=BB3_5 Depth=1
	s_mov_b64 s[0:1], 0
.LBB3_1167:                             ;   Parent Loop BB3_5 Depth=1
                                        ; =>  This Inner Loop Header: Depth=2
	s_sleep 1
	global_store_dwordx2 v[4:5], v[14:15], off
	buffer_wbl2
	s_waitcnt vmcnt(0)
	global_atomic_cmpswap_x2 v[8:9], v35, v[12:15], s[2:3] offset:24 glc
	s_waitcnt vmcnt(0)
	v_cmp_eq_u64_e32 vcc, v[8:9], v[14:15]
	s_or_b64 s[0:1], vcc, s[0:1]
	v_pk_mov_b32 v[14:15], v[8:9], v[8:9] op_sel:[0,1]
	s_andn2_b64 exec, exec, s[0:1]
	s_cbranch_execnz .LBB3_1167
.LBB3_1168:                             ;   in Loop: Header=BB3_5 Depth=1
	s_or_b64 exec, exec, s[16:17]
.LBB3_1169:                             ;   in Loop: Header=BB3_5 Depth=1
	v_readfirstlane_b32 s0, v32
	v_cmp_eq_u32_e64 s[0:1], s0, v32
	v_pk_mov_b32 v[4:5], 0, 0
	s_and_saveexec_b64 s[14:15], s[0:1]
	s_cbranch_execz .LBB3_1175
; %bb.1170:                             ;   in Loop: Header=BB3_5 Depth=1
	global_load_dwordx2 v[14:15], v35, s[2:3] offset:24 glc
	s_waitcnt vmcnt(0)
	buffer_invl2
	buffer_wbinvl1_vol
	global_load_dwordx2 v[4:5], v35, s[2:3] offset:40
	global_load_dwordx2 v[8:9], v35, s[2:3]
	s_waitcnt vmcnt(1)
	v_and_b32_e32 v1, v4, v14
	v_and_b32_e32 v2, v5, v15
	v_mul_lo_u32 v2, v2, 24
	v_mul_hi_u32 v4, v1, 24
	v_mul_lo_u32 v1, v1, 24
	v_add_u32_e32 v2, v4, v2
	s_waitcnt vmcnt(0)
	v_add_co_u32_e32 v4, vcc, v8, v1
	v_addc_co_u32_e32 v5, vcc, v9, v2, vcc
	global_load_dwordx2 v[12:13], v[4:5], off glc
	s_waitcnt vmcnt(0)
	global_atomic_cmpswap_x2 v[4:5], v35, v[12:15], s[2:3] offset:24 glc
	s_waitcnt vmcnt(0)
	buffer_invl2
	buffer_wbinvl1_vol
	v_cmp_ne_u64_e32 vcc, v[4:5], v[14:15]
	s_and_saveexec_b64 s[16:17], vcc
	s_cbranch_execz .LBB3_1174
; %bb.1171:                             ;   in Loop: Header=BB3_5 Depth=1
	s_mov_b64 s[18:19], 0
.LBB3_1172:                             ;   Parent Loop BB3_5 Depth=1
                                        ; =>  This Inner Loop Header: Depth=2
	s_sleep 1
	global_load_dwordx2 v[8:9], v35, s[2:3] offset:40
	global_load_dwordx2 v[12:13], v35, s[2:3]
	v_pk_mov_b32 v[14:15], v[4:5], v[4:5] op_sel:[0,1]
	s_waitcnt vmcnt(1)
	v_and_b32_e32 v2, v8, v14
	s_waitcnt vmcnt(0)
	v_mad_u64_u32 v[4:5], s[20:21], v2, 24, v[12:13]
	v_and_b32_e32 v1, v9, v15
	v_mov_b32_e32 v2, v5
	v_mad_u64_u32 v[8:9], s[20:21], v1, 24, v[2:3]
	v_mov_b32_e32 v5, v8
	global_load_dwordx2 v[12:13], v[4:5], off glc
	s_waitcnt vmcnt(0)
	global_atomic_cmpswap_x2 v[4:5], v35, v[12:15], s[2:3] offset:24 glc
	s_waitcnt vmcnt(0)
	buffer_invl2
	buffer_wbinvl1_vol
	v_cmp_eq_u64_e32 vcc, v[4:5], v[14:15]
	s_or_b64 s[18:19], vcc, s[18:19]
	s_andn2_b64 exec, exec, s[18:19]
	s_cbranch_execnz .LBB3_1172
; %bb.1173:                             ;   in Loop: Header=BB3_5 Depth=1
	s_or_b64 exec, exec, s[18:19]
.LBB3_1174:                             ;   in Loop: Header=BB3_5 Depth=1
	s_or_b64 exec, exec, s[16:17]
.LBB3_1175:                             ;   in Loop: Header=BB3_5 Depth=1
	s_or_b64 exec, exec, s[14:15]
	global_load_dwordx2 v[8:9], v35, s[2:3] offset:40
	global_load_dwordx4 v[14:17], v35, s[2:3]
	v_readfirstlane_b32 s14, v4
	v_readfirstlane_b32 s15, v5
	s_mov_b64 s[16:17], exec
	s_waitcnt vmcnt(1)
	v_readfirstlane_b32 s18, v8
	v_readfirstlane_b32 s19, v9
	s_and_b64 s[18:19], s[14:15], s[18:19]
	s_mul_i32 s20, s19, 24
	s_mul_hi_u32 s21, s18, 24
	s_mul_i32 s22, s18, 24
	s_add_i32 s20, s21, s20
	v_mov_b32_e32 v1, s20
	s_waitcnt vmcnt(0)
	v_add_co_u32_e32 v18, vcc, s22, v14
	v_addc_co_u32_e32 v19, vcc, v15, v1, vcc
	s_and_saveexec_b64 s[20:21], s[0:1]
	s_cbranch_execz .LBB3_1177
; %bb.1176:                             ;   in Loop: Header=BB3_5 Depth=1
	v_pk_mov_b32 v[4:5], s[16:17], s[16:17] op_sel:[0,1]
	global_store_dwordx4 v[18:19], v[4:7], off offset:8
.LBB3_1177:                             ;   in Loop: Header=BB3_5 Depth=1
	s_or_b64 exec, exec, s[20:21]
	s_lshl_b64 s[16:17], s[18:19], 12
	v_mov_b32_e32 v1, s17
	v_add_co_u32_e32 v4, vcc, s16, v16
	v_addc_co_u32_e32 v1, vcc, v17, v1, vcc
	v_and_or_b32 v10, v10, s29, 32
	v_mov_b32_e32 v12, v30
	v_mov_b32_e32 v13, v31
	v_readfirstlane_b32 s16, v4
	v_readfirstlane_b32 s17, v1
	s_nop 4
	global_store_dwordx4 v46, v[10:13], s[16:17]
	v_pk_mov_b32 v[8:9], s[8:9], s[8:9] op_sel:[0,1]
	v_pk_mov_b32 v[10:11], s[10:11], s[10:11] op_sel:[0,1]
	global_store_dwordx4 v46, v[8:11], s[16:17] offset:16
	global_store_dwordx4 v46, v[8:11], s[16:17] offset:32
	global_store_dwordx4 v46, v[8:11], s[16:17] offset:48
	s_and_saveexec_b64 s[16:17], s[0:1]
	s_cbranch_execz .LBB3_1185
; %bb.1178:                             ;   in Loop: Header=BB3_5 Depth=1
	global_load_dwordx2 v[22:23], v35, s[2:3] offset:32 glc
	global_load_dwordx2 v[8:9], v35, s[2:3] offset:40
	v_mov_b32_e32 v20, s14
	v_mov_b32_e32 v21, s15
	s_waitcnt vmcnt(0)
	v_readfirstlane_b32 s18, v8
	v_readfirstlane_b32 s19, v9
	s_and_b64 s[18:19], s[18:19], s[14:15]
	s_mul_i32 s19, s19, 24
	s_mul_hi_u32 s20, s18, 24
	s_mul_i32 s18, s18, 24
	s_add_i32 s19, s20, s19
	v_mov_b32_e32 v2, s19
	v_add_co_u32_e32 v12, vcc, s18, v14
	v_addc_co_u32_e32 v13, vcc, v15, v2, vcc
	global_store_dwordx2 v[12:13], v[22:23], off
	buffer_wbl2
	s_waitcnt vmcnt(0)
	global_atomic_cmpswap_x2 v[10:11], v35, v[20:23], s[2:3] offset:32 glc
	s_waitcnt vmcnt(0)
	v_cmp_ne_u64_e32 vcc, v[10:11], v[22:23]
	s_and_saveexec_b64 s[18:19], vcc
	s_cbranch_execz .LBB3_1181
; %bb.1179:                             ;   in Loop: Header=BB3_5 Depth=1
	s_mov_b64 s[20:21], 0
.LBB3_1180:                             ;   Parent Loop BB3_5 Depth=1
                                        ; =>  This Inner Loop Header: Depth=2
	s_sleep 1
	global_store_dwordx2 v[12:13], v[10:11], off
	v_mov_b32_e32 v8, s14
	v_mov_b32_e32 v9, s15
	buffer_wbl2
	s_waitcnt vmcnt(0)
	global_atomic_cmpswap_x2 v[8:9], v35, v[8:11], s[2:3] offset:32 glc
	s_waitcnt vmcnt(0)
	v_cmp_eq_u64_e32 vcc, v[8:9], v[10:11]
	s_or_b64 s[20:21], vcc, s[20:21]
	v_pk_mov_b32 v[10:11], v[8:9], v[8:9] op_sel:[0,1]
	s_andn2_b64 exec, exec, s[20:21]
	s_cbranch_execnz .LBB3_1180
.LBB3_1181:                             ;   in Loop: Header=BB3_5 Depth=1
	s_or_b64 exec, exec, s[18:19]
	global_load_dwordx2 v[8:9], v35, s[2:3] offset:16
	s_mov_b64 s[20:21], exec
	v_mbcnt_lo_u32_b32 v2, s20, 0
	v_mbcnt_hi_u32_b32 v2, s21, v2
	v_cmp_eq_u32_e32 vcc, 0, v2
	s_and_saveexec_b64 s[18:19], vcc
	s_cbranch_execz .LBB3_1183
; %bb.1182:                             ;   in Loop: Header=BB3_5 Depth=1
	s_bcnt1_i32_b64 s20, s[20:21]
	v_mov_b32_e32 v2, s20
	buffer_wbl2
	s_waitcnt vmcnt(0)
	global_atomic_add_x2 v[8:9], v[2:3], off offset:8
.LBB3_1183:                             ;   in Loop: Header=BB3_5 Depth=1
	s_or_b64 exec, exec, s[18:19]
	s_waitcnt vmcnt(0)
	global_load_dwordx2 v[10:11], v[8:9], off offset:16
	s_waitcnt vmcnt(0)
	v_cmp_eq_u64_e32 vcc, 0, v[10:11]
	s_cbranch_vccnz .LBB3_1185
; %bb.1184:                             ;   in Loop: Header=BB3_5 Depth=1
	global_load_dword v34, v[8:9], off offset:24
	s_waitcnt vmcnt(0)
	v_and_b32_e32 v2, 0xffffff, v34
	v_readfirstlane_b32 m0, v2
	buffer_wbl2
	global_store_dwordx2 v[10:11], v[34:35], off
	s_sendmsg sendmsg(MSG_INTERRUPT)
.LBB3_1185:                             ;   in Loop: Header=BB3_5 Depth=1
	s_or_b64 exec, exec, s[16:17]
	v_add_co_u32_e32 v4, vcc, v4, v46
	v_addc_co_u32_e32 v5, vcc, 0, v1, vcc
	s_branch .LBB3_1189
.LBB3_1186:                             ;   in Loop: Header=BB3_1189 Depth=2
	s_or_b64 exec, exec, s[16:17]
	v_readfirstlane_b32 s16, v1
	s_cmp_eq_u32 s16, 0
	s_cbranch_scc1 .LBB3_1188
; %bb.1187:                             ;   in Loop: Header=BB3_1189 Depth=2
	s_sleep 1
	s_cbranch_execnz .LBB3_1189
	s_branch .LBB3_1191
.LBB3_1188:                             ;   in Loop: Header=BB3_5 Depth=1
	s_branch .LBB3_1191
.LBB3_1189:                             ;   Parent Loop BB3_5 Depth=1
                                        ; =>  This Inner Loop Header: Depth=2
	v_mov_b32_e32 v1, 1
	s_and_saveexec_b64 s[16:17], s[0:1]
	s_cbranch_execz .LBB3_1186
; %bb.1190:                             ;   in Loop: Header=BB3_1189 Depth=2
	global_load_dword v1, v[18:19], off offset:20 glc
	s_waitcnt vmcnt(0)
	buffer_invl2
	buffer_wbinvl1_vol
	v_and_b32_e32 v1, 1, v1
	s_branch .LBB3_1186
.LBB3_1191:                             ;   in Loop: Header=BB3_5 Depth=1
	global_load_dwordx2 v[8:9], v[4:5], off
	s_and_saveexec_b64 s[16:17], s[0:1]
	s_cbranch_execz .LBB3_1195
; %bb.1192:                             ;   in Loop: Header=BB3_5 Depth=1
	global_load_dwordx2 v[4:5], v35, s[2:3] offset:40
	global_load_dwordx2 v[14:15], v35, s[2:3] offset:24 glc
	global_load_dwordx2 v[16:17], v35, s[2:3]
	v_mov_b32_e32 v1, s15
	s_waitcnt vmcnt(2)
	v_add_co_u32_e32 v2, vcc, 1, v4
	v_addc_co_u32_e32 v13, vcc, 0, v5, vcc
	v_add_co_u32_e32 v10, vcc, s14, v2
	v_addc_co_u32_e32 v11, vcc, v13, v1, vcc
	v_cmp_eq_u64_e32 vcc, 0, v[10:11]
	v_cndmask_b32_e32 v11, v11, v13, vcc
	v_cndmask_b32_e32 v10, v10, v2, vcc
	v_and_b32_e32 v1, v11, v5
	v_and_b32_e32 v2, v10, v4
	v_mul_lo_u32 v1, v1, 24
	v_mul_hi_u32 v4, v2, 24
	v_mul_lo_u32 v2, v2, 24
	v_add_u32_e32 v1, v4, v1
	s_waitcnt vmcnt(0)
	v_add_co_u32_e32 v4, vcc, v16, v2
	v_addc_co_u32_e32 v5, vcc, v17, v1, vcc
	v_mov_b32_e32 v12, v14
	global_store_dwordx2 v[4:5], v[14:15], off
	v_mov_b32_e32 v13, v15
	buffer_wbl2
	s_waitcnt vmcnt(0)
	global_atomic_cmpswap_x2 v[12:13], v35, v[10:13], s[2:3] offset:24 glc
	s_waitcnt vmcnt(0)
	v_cmp_ne_u64_e32 vcc, v[12:13], v[14:15]
	s_and_b64 exec, exec, vcc
	s_cbranch_execz .LBB3_1195
; %bb.1193:                             ;   in Loop: Header=BB3_5 Depth=1
	s_mov_b64 s[0:1], 0
.LBB3_1194:                             ;   Parent Loop BB3_5 Depth=1
                                        ; =>  This Inner Loop Header: Depth=2
	s_sleep 1
	global_store_dwordx2 v[4:5], v[12:13], off
	buffer_wbl2
	s_waitcnt vmcnt(0)
	global_atomic_cmpswap_x2 v[14:15], v35, v[10:13], s[2:3] offset:24 glc
	s_waitcnt vmcnt(0)
	v_cmp_eq_u64_e32 vcc, v[14:15], v[12:13]
	s_or_b64 s[0:1], vcc, s[0:1]
	v_pk_mov_b32 v[12:13], v[14:15], v[14:15] op_sel:[0,1]
	s_andn2_b64 exec, exec, s[0:1]
	s_cbranch_execnz .LBB3_1194
.LBB3_1195:                             ;   in Loop: Header=BB3_5 Depth=1
	s_or_b64 exec, exec, s[16:17]
	v_readfirstlane_b32 s0, v32
	v_cmp_eq_u32_e64 s[0:1], s0, v32
	v_pk_mov_b32 v[4:5], 0, 0
	s_and_saveexec_b64 s[14:15], s[0:1]
	s_cbranch_execz .LBB3_1201
; %bb.1196:                             ;   in Loop: Header=BB3_5 Depth=1
	global_load_dwordx2 v[12:13], v35, s[2:3] offset:24 glc
	s_waitcnt vmcnt(0)
	buffer_invl2
	buffer_wbinvl1_vol
	global_load_dwordx2 v[4:5], v35, s[2:3] offset:40
	global_load_dwordx2 v[10:11], v35, s[2:3]
	s_waitcnt vmcnt(1)
	v_and_b32_e32 v1, v4, v12
	v_and_b32_e32 v2, v5, v13
	v_mul_lo_u32 v2, v2, 24
	v_mul_hi_u32 v4, v1, 24
	v_mul_lo_u32 v1, v1, 24
	v_add_u32_e32 v2, v4, v2
	s_waitcnt vmcnt(0)
	v_add_co_u32_e32 v4, vcc, v10, v1
	v_addc_co_u32_e32 v5, vcc, v11, v2, vcc
	global_load_dwordx2 v[10:11], v[4:5], off glc
	s_waitcnt vmcnt(0)
	global_atomic_cmpswap_x2 v[4:5], v35, v[10:13], s[2:3] offset:24 glc
	s_waitcnt vmcnt(0)
	buffer_invl2
	buffer_wbinvl1_vol
	v_cmp_ne_u64_e32 vcc, v[4:5], v[12:13]
	s_and_saveexec_b64 s[16:17], vcc
	s_cbranch_execz .LBB3_1200
; %bb.1197:                             ;   in Loop: Header=BB3_5 Depth=1
	s_mov_b64 s[18:19], 0
.LBB3_1198:                             ;   Parent Loop BB3_5 Depth=1
                                        ; =>  This Inner Loop Header: Depth=2
	s_sleep 1
	global_load_dwordx2 v[10:11], v35, s[2:3] offset:40
	global_load_dwordx2 v[14:15], v35, s[2:3]
	v_pk_mov_b32 v[12:13], v[4:5], v[4:5] op_sel:[0,1]
	s_waitcnt vmcnt(1)
	v_and_b32_e32 v2, v10, v12
	s_waitcnt vmcnt(0)
	v_mad_u64_u32 v[4:5], s[20:21], v2, 24, v[14:15]
	v_and_b32_e32 v1, v11, v13
	v_mov_b32_e32 v2, v5
	v_mad_u64_u32 v[10:11], s[20:21], v1, 24, v[2:3]
	v_mov_b32_e32 v5, v10
	global_load_dwordx2 v[10:11], v[4:5], off glc
	s_waitcnt vmcnt(0)
	global_atomic_cmpswap_x2 v[4:5], v35, v[10:13], s[2:3] offset:24 glc
	s_waitcnt vmcnt(0)
	buffer_invl2
	buffer_wbinvl1_vol
	v_cmp_eq_u64_e32 vcc, v[4:5], v[12:13]
	s_or_b64 s[18:19], vcc, s[18:19]
	s_andn2_b64 exec, exec, s[18:19]
	s_cbranch_execnz .LBB3_1198
; %bb.1199:                             ;   in Loop: Header=BB3_5 Depth=1
	s_or_b64 exec, exec, s[18:19]
.LBB3_1200:                             ;   in Loop: Header=BB3_5 Depth=1
	s_or_b64 exec, exec, s[16:17]
.LBB3_1201:                             ;   in Loop: Header=BB3_5 Depth=1
	s_or_b64 exec, exec, s[14:15]
	global_load_dwordx2 v[10:11], v35, s[2:3] offset:40
	global_load_dwordx4 v[12:15], v35, s[2:3]
	v_readfirstlane_b32 s14, v4
	v_readfirstlane_b32 s15, v5
	s_mov_b64 s[16:17], exec
	s_waitcnt vmcnt(1)
	v_readfirstlane_b32 s18, v10
	v_readfirstlane_b32 s19, v11
	s_and_b64 s[18:19], s[14:15], s[18:19]
	s_mul_i32 s20, s19, 24
	s_mul_hi_u32 s21, s18, 24
	s_mul_i32 s22, s18, 24
	s_add_i32 s20, s21, s20
	v_mov_b32_e32 v1, s20
	s_waitcnt vmcnt(0)
	v_add_co_u32_e32 v16, vcc, s22, v12
	v_addc_co_u32_e32 v17, vcc, v13, v1, vcc
	s_and_saveexec_b64 s[20:21], s[0:1]
	s_cbranch_execz .LBB3_1203
; %bb.1202:                             ;   in Loop: Header=BB3_5 Depth=1
	v_pk_mov_b32 v[4:5], s[16:17], s[16:17] op_sel:[0,1]
	global_store_dwordx4 v[16:17], v[4:7], off offset:8
.LBB3_1203:                             ;   in Loop: Header=BB3_5 Depth=1
	s_or_b64 exec, exec, s[20:21]
	s_lshl_b64 s[16:17], s[18:19], 12
	v_mov_b32_e32 v1, s17
	v_add_co_u32_e32 v4, vcc, s16, v14
	v_addc_co_u32_e32 v1, vcc, v15, v1, vcc
	s_mul_i32 s16, s31, 0x3e8
	v_and_or_b32 v8, v8, s30, 34
	v_mov_b32_e32 v10, s16
	v_mov_b32_e32 v11, v3
	v_readfirstlane_b32 s16, v4
	v_readfirstlane_b32 s17, v1
	s_nop 4
	global_store_dwordx4 v46, v[8:11], s[16:17]
	s_nop 0
	v_pk_mov_b32 v[8:9], s[8:9], s[8:9] op_sel:[0,1]
	v_pk_mov_b32 v[10:11], s[10:11], s[10:11] op_sel:[0,1]
	global_store_dwordx4 v46, v[8:11], s[16:17] offset:16
	global_store_dwordx4 v46, v[8:11], s[16:17] offset:32
	;; [unrolled: 1-line block ×3, first 2 shown]
	s_and_saveexec_b64 s[16:17], s[0:1]
	s_cbranch_execz .LBB3_1211
; %bb.1204:                             ;   in Loop: Header=BB3_5 Depth=1
	global_load_dwordx2 v[20:21], v35, s[2:3] offset:32 glc
	global_load_dwordx2 v[8:9], v35, s[2:3] offset:40
	v_mov_b32_e32 v18, s14
	v_mov_b32_e32 v19, s15
	s_waitcnt vmcnt(0)
	v_readfirstlane_b32 s18, v8
	v_readfirstlane_b32 s19, v9
	s_and_b64 s[18:19], s[18:19], s[14:15]
	s_mul_i32 s19, s19, 24
	s_mul_hi_u32 s20, s18, 24
	s_mul_i32 s18, s18, 24
	s_add_i32 s19, s20, s19
	v_mov_b32_e32 v2, s19
	v_add_co_u32_e32 v12, vcc, s18, v12
	v_addc_co_u32_e32 v13, vcc, v13, v2, vcc
	global_store_dwordx2 v[12:13], v[20:21], off
	buffer_wbl2
	s_waitcnt vmcnt(0)
	global_atomic_cmpswap_x2 v[10:11], v35, v[18:21], s[2:3] offset:32 glc
	s_waitcnt vmcnt(0)
	v_cmp_ne_u64_e32 vcc, v[10:11], v[20:21]
	s_and_saveexec_b64 s[18:19], vcc
	s_cbranch_execz .LBB3_1207
; %bb.1205:                             ;   in Loop: Header=BB3_5 Depth=1
	s_mov_b64 s[20:21], 0
.LBB3_1206:                             ;   Parent Loop BB3_5 Depth=1
                                        ; =>  This Inner Loop Header: Depth=2
	s_sleep 1
	global_store_dwordx2 v[12:13], v[10:11], off
	v_mov_b32_e32 v8, s14
	v_mov_b32_e32 v9, s15
	buffer_wbl2
	s_waitcnt vmcnt(0)
	global_atomic_cmpswap_x2 v[8:9], v35, v[8:11], s[2:3] offset:32 glc
	s_waitcnt vmcnt(0)
	v_cmp_eq_u64_e32 vcc, v[8:9], v[10:11]
	s_or_b64 s[20:21], vcc, s[20:21]
	v_pk_mov_b32 v[10:11], v[8:9], v[8:9] op_sel:[0,1]
	s_andn2_b64 exec, exec, s[20:21]
	s_cbranch_execnz .LBB3_1206
.LBB3_1207:                             ;   in Loop: Header=BB3_5 Depth=1
	s_or_b64 exec, exec, s[18:19]
	global_load_dwordx2 v[8:9], v35, s[2:3] offset:16
	s_mov_b64 s[20:21], exec
	v_mbcnt_lo_u32_b32 v2, s20, 0
	v_mbcnt_hi_u32_b32 v2, s21, v2
	v_cmp_eq_u32_e32 vcc, 0, v2
	s_and_saveexec_b64 s[18:19], vcc
	s_cbranch_execz .LBB3_1209
; %bb.1208:                             ;   in Loop: Header=BB3_5 Depth=1
	s_bcnt1_i32_b64 s20, s[20:21]
	v_mov_b32_e32 v2, s20
	buffer_wbl2
	s_waitcnt vmcnt(0)
	global_atomic_add_x2 v[8:9], v[2:3], off offset:8
.LBB3_1209:                             ;   in Loop: Header=BB3_5 Depth=1
	s_or_b64 exec, exec, s[18:19]
	s_waitcnt vmcnt(0)
	global_load_dwordx2 v[10:11], v[8:9], off offset:16
	s_waitcnt vmcnt(0)
	v_cmp_eq_u64_e32 vcc, 0, v[10:11]
	s_cbranch_vccnz .LBB3_1211
; %bb.1210:                             ;   in Loop: Header=BB3_5 Depth=1
	global_load_dword v34, v[8:9], off offset:24
	s_waitcnt vmcnt(0)
	v_and_b32_e32 v2, 0xffffff, v34
	v_readfirstlane_b32 m0, v2
	buffer_wbl2
	global_store_dwordx2 v[10:11], v[34:35], off
	s_sendmsg sendmsg(MSG_INTERRUPT)
.LBB3_1211:                             ;   in Loop: Header=BB3_5 Depth=1
	s_or_b64 exec, exec, s[16:17]
	v_add_co_u32_e32 v4, vcc, v4, v46
	v_addc_co_u32_e32 v5, vcc, 0, v1, vcc
	s_branch .LBB3_1215
.LBB3_1212:                             ;   in Loop: Header=BB3_1215 Depth=2
	s_or_b64 exec, exec, s[16:17]
	v_readfirstlane_b32 s16, v1
	s_cmp_eq_u32 s16, 0
	s_cbranch_scc1 .LBB3_1214
; %bb.1213:                             ;   in Loop: Header=BB3_1215 Depth=2
	s_sleep 1
	s_cbranch_execnz .LBB3_1215
	s_branch .LBB3_1217
.LBB3_1214:                             ;   in Loop: Header=BB3_5 Depth=1
	s_branch .LBB3_1217
.LBB3_1215:                             ;   Parent Loop BB3_5 Depth=1
                                        ; =>  This Inner Loop Header: Depth=2
	v_mov_b32_e32 v1, 1
	s_and_saveexec_b64 s[16:17], s[0:1]
	s_cbranch_execz .LBB3_1212
; %bb.1216:                             ;   in Loop: Header=BB3_1215 Depth=2
	global_load_dword v1, v[16:17], off offset:20 glc
	s_waitcnt vmcnt(0)
	buffer_invl2
	buffer_wbinvl1_vol
	v_and_b32_e32 v1, 1, v1
	s_branch .LBB3_1212
.LBB3_1217:                             ;   in Loop: Header=BB3_5 Depth=1
	global_load_dwordx2 v[4:5], v[4:5], off
	s_and_saveexec_b64 s[16:17], s[0:1]
	s_cbranch_execz .LBB3_4
; %bb.1218:                             ;   in Loop: Header=BB3_5 Depth=1
	global_load_dwordx2 v[12:13], v35, s[2:3] offset:40
	global_load_dwordx2 v[14:15], v35, s[2:3] offset:24 glc
	global_load_dwordx2 v[16:17], v35, s[2:3]
	v_mov_b32_e32 v1, s15
	s_waitcnt vmcnt(2)
	v_add_co_u32_e32 v2, vcc, 1, v12
	v_addc_co_u32_e32 v5, vcc, 0, v13, vcc
	v_add_co_u32_e32 v8, vcc, s14, v2
	v_addc_co_u32_e32 v9, vcc, v5, v1, vcc
	v_cmp_eq_u64_e32 vcc, 0, v[8:9]
	v_cndmask_b32_e32 v9, v9, v5, vcc
	v_cndmask_b32_e32 v8, v8, v2, vcc
	v_and_b32_e32 v1, v9, v13
	v_and_b32_e32 v2, v8, v12
	v_mul_lo_u32 v1, v1, 24
	v_mul_hi_u32 v5, v2, 24
	v_mul_lo_u32 v2, v2, 24
	v_add_u32_e32 v1, v5, v1
	s_waitcnt vmcnt(0)
	v_add_co_u32_e32 v12, vcc, v16, v2
	v_addc_co_u32_e32 v13, vcc, v17, v1, vcc
	v_mov_b32_e32 v10, v14
	global_store_dwordx2 v[12:13], v[14:15], off
	v_mov_b32_e32 v11, v15
	buffer_wbl2
	s_waitcnt vmcnt(0)
	global_atomic_cmpswap_x2 v[10:11], v35, v[8:11], s[2:3] offset:24 glc
	s_waitcnt vmcnt(0)
	v_cmp_ne_u64_e32 vcc, v[10:11], v[14:15]
	s_and_b64 exec, exec, vcc
	s_cbranch_execz .LBB3_4
; %bb.1219:                             ;   in Loop: Header=BB3_5 Depth=1
	s_mov_b64 s[0:1], 0
.LBB3_1220:                             ;   Parent Loop BB3_5 Depth=1
                                        ; =>  This Inner Loop Header: Depth=2
	s_sleep 1
	global_store_dwordx2 v[12:13], v[10:11], off
	buffer_wbl2
	s_waitcnt vmcnt(0)
	global_atomic_cmpswap_x2 v[14:15], v35, v[8:11], s[2:3] offset:24 glc
	s_waitcnt vmcnt(0)
	v_cmp_eq_u64_e32 vcc, v[14:15], v[10:11]
	s_or_b64 s[0:1], vcc, s[0:1]
	v_pk_mov_b32 v[10:11], v[14:15], v[14:15] op_sel:[0,1]
	s_andn2_b64 exec, exec, s[0:1]
	s_cbranch_execnz .LBB3_1220
	s_branch .LBB3_4
.LBB3_1221:
	s_load_dwordx2 s[0:1], s[4:5], 0x8
	v_lshlrev_b64 v[0:1], 2, v[30:31]
	s_waitcnt lgkmcnt(0)
	v_mov_b32_e32 v2, s1
	v_add_co_u32_e32 v0, vcc, s0, v0
	v_addc_co_u32_e32 v1, vcc, v2, v1, vcc
	global_store_dword v[0:1], v33, off
	s_endpgm
	.section	.rodata,"a",@progbits
	.p2align	6, 0x0
	.amdhsa_kernel _ZN19hipPrintfStressTest25kernel_printf_variablestrEjPi
		.amdhsa_group_segment_fixed_size 0
		.amdhsa_private_segment_fixed_size 0
		.amdhsa_kernarg_size 272
		.amdhsa_user_sgpr_count 6
		.amdhsa_user_sgpr_private_segment_buffer 1
		.amdhsa_user_sgpr_dispatch_ptr 0
		.amdhsa_user_sgpr_queue_ptr 0
		.amdhsa_user_sgpr_kernarg_segment_ptr 1
		.amdhsa_user_sgpr_dispatch_id 0
		.amdhsa_user_sgpr_flat_scratch_init 0
		.amdhsa_user_sgpr_kernarg_preload_length 0
		.amdhsa_user_sgpr_kernarg_preload_offset 0
		.amdhsa_user_sgpr_private_segment_size 0
		.amdhsa_uses_dynamic_stack 0
		.amdhsa_system_sgpr_private_segment_wavefront_offset 0
		.amdhsa_system_sgpr_workgroup_id_x 1
		.amdhsa_system_sgpr_workgroup_id_y 0
		.amdhsa_system_sgpr_workgroup_id_z 0
		.amdhsa_system_sgpr_workgroup_info 0
		.amdhsa_system_vgpr_workitem_id 0
		.amdhsa_next_free_vgpr 47
		.amdhsa_next_free_sgpr 34
		.amdhsa_accum_offset 48
		.amdhsa_reserve_vcc 1
		.amdhsa_reserve_flat_scratch 0
		.amdhsa_float_round_mode_32 0
		.amdhsa_float_round_mode_16_64 0
		.amdhsa_float_denorm_mode_32 3
		.amdhsa_float_denorm_mode_16_64 3
		.amdhsa_dx10_clamp 1
		.amdhsa_ieee_mode 1
		.amdhsa_fp16_overflow 0
		.amdhsa_tg_split 0
		.amdhsa_exception_fp_ieee_invalid_op 0
		.amdhsa_exception_fp_denorm_src 0
		.amdhsa_exception_fp_ieee_div_zero 0
		.amdhsa_exception_fp_ieee_overflow 0
		.amdhsa_exception_fp_ieee_underflow 0
		.amdhsa_exception_fp_ieee_inexact 0
		.amdhsa_exception_int_div_zero 0
	.end_amdhsa_kernel
	.text
.Lfunc_end3:
	.size	_ZN19hipPrintfStressTest25kernel_printf_variablestrEjPi, .Lfunc_end3-_ZN19hipPrintfStressTest25kernel_printf_variablestrEjPi
                                        ; -- End function
	.section	.AMDGPU.csdata,"",@progbits
; Kernel info:
; codeLenInByte = 42712
; NumSgprs: 38
; NumVgprs: 47
; NumAgprs: 0
; TotalNumVgprs: 47
; ScratchSize: 0
; MemoryBound: 0
; FloatMode: 240
; IeeeMode: 1
; LDSByteSize: 0 bytes/workgroup (compile time only)
; SGPRBlocks: 4
; VGPRBlocks: 5
; NumSGPRsForWavesPerEU: 38
; NumVGPRsForWavesPerEU: 47
; AccumOffset: 48
; Occupancy: 8
; WaveLimiterHint : 1
; COMPUTE_PGM_RSRC2:SCRATCH_EN: 0
; COMPUTE_PGM_RSRC2:USER_SGPR: 6
; COMPUTE_PGM_RSRC2:TRAP_HANDLER: 0
; COMPUTE_PGM_RSRC2:TGID_X_EN: 1
; COMPUTE_PGM_RSRC2:TGID_Y_EN: 0
; COMPUTE_PGM_RSRC2:TGID_Z_EN: 0
; COMPUTE_PGM_RSRC2:TIDIG_COMP_CNT: 0
; COMPUTE_PGM_RSRC3_GFX90A:ACCUM_OFFSET: 11
; COMPUTE_PGM_RSRC3_GFX90A:TG_SPLIT: 0
	.text
	.protected	_ZN19hipPrintfStressTest21kernel_dependent_calcEjPi ; -- Begin function _ZN19hipPrintfStressTest21kernel_dependent_calcEjPi
	.globl	_ZN19hipPrintfStressTest21kernel_dependent_calcEjPi
	.p2align	8
	.type	_ZN19hipPrintfStressTest21kernel_dependent_calcEjPi,@function
_ZN19hipPrintfStressTest21kernel_dependent_calcEjPi: ; @_ZN19hipPrintfStressTest21kernel_dependent_calcEjPi
; %bb.0:
	s_load_dword s2, s[4:5], 0x1c
	s_load_dword s28, s[4:5], 0x0
	s_add_u32 s0, s4, 16
	s_addc_u32 s1, s5, 0
	s_waitcnt lgkmcnt(0)
	s_and_b32 s2, s2, 0xffff
	s_mul_i32 s6, s6, s2
	s_cmp_lt_i32 s28, 1
	v_add_u32_e32 v38, s6, v0
	s_cbranch_scc1 .LBB4_1115
; %bb.1:
	v_add_u32_e32 v39, 1, v38
	v_cvt_f32_u32_e32 v1, v39
	v_mbcnt_lo_u32_b32 v0, -1, 0
	v_mbcnt_hi_u32_b32 v40, -1, v0
	s_load_dwordx2 s[2:3], s[0:1], 0x50
	v_rcp_iflag_f32_e32 v0, v1
	s_getpc_b64 s[0:1]
	s_add_u32 s0, s0, .str.7@rel32@lo+4
	s_addc_u32 s1, s1, .str.7@rel32@hi+12
	s_cmp_lg_u64 s[0:1], 0
	v_not_b32_e32 v1, v38
	v_mul_f32_e32 v0, 0x4f7ffffe, v0
	v_cvt_u32_f32_e32 v0, v0
	s_cselect_b64 s[6:7], -1, 0
	s_getpc_b64 s[0:1]
	s_add_u32 s0, s0, .str.6@rel32@lo+4
	s_addc_u32 s1, s1, .str.6@rel32@hi+12
	s_mov_b32 s8, 0
	v_mul_lo_u32 v1, v1, v0
	v_mov_b32_e32 v3, 0
	s_cmp_lg_u64 s[0:1], 0
	v_mul_hi_u32 v1, v0, v1
	v_mov_b32_e32 v43, 0
	s_cselect_b64 s[12:13], -1, 0
	v_add_u32_e32 v44, v0, v1
	s_mov_b32 s9, s8
	s_mov_b32 s10, s8
	;; [unrolled: 1-line block ×3, first 2 shown]
	s_movk_i32 s29, 0xff1f
	s_movk_i32 s30, 0xff1d
	v_mov_b32_e32 v6, 2
	v_mov_b32_e32 v7, 1
	v_lshlrev_b32_e32 v45, 6, v40
	v_mov_b32_e32 v0, 33
	v_mov_b32_e32 v41, v3
	s_mov_b32 s31, s8
	s_branch .LBB4_3
.LBB4_2:                                ;   in Loop: Header=BB4_3 Depth=1
	s_or_b64 exec, exec, s[16:17]
	v_add3_u32 v1, v41, v46, v48
	s_add_i32 s31, s31, 1
	s_cmp_eq_u32 s31, s28
	s_waitcnt vmcnt(0)
	v_add3_u32 v41, v1, v34, v4
	s_cbranch_scc1 .LBB4_1116
.LBB4_3:                                ; =>This Loop Header: Depth=1
                                        ;     Child Loop BB4_6 Depth 2
                                        ;     Child Loop BB4_14 Depth 2
                                        ;     Child Loop BB4_23 Depth 2
                                        ;     Child Loop BB4_28 Depth 2
                                        ;     Child Loop BB4_203 Depth 2
                                        ;     Child Loop BB4_211 Depth 2
                                        ;     Child Loop BB4_220 Depth 2
                                        ;     Child Loop BB4_225 Depth 2
                                        ;     Child Loop BB4_32 Depth 2
                                        ;       Child Loop BB4_35 Depth 3
                                        ;       Child Loop BB4_42 Depth 3
                                        ;       Child Loop BB4_50 Depth 3
                                        ;       Child Loop BB4_58 Depth 3
                                        ;       Child Loop BB4_66 Depth 3
                                        ;       Child Loop BB4_74 Depth 3
                                        ;       Child Loop BB4_82 Depth 3
                                        ;       Child Loop BB4_90 Depth 3
                                        ;       Child Loop BB4_98 Depth 3
                                        ;       Child Loop BB4_107 Depth 3
                                        ;       Child Loop BB4_112 Depth 3
                                        ;     Child Loop BB4_231 Depth 2
                                        ;     Child Loop BB4_239 Depth 2
                                        ;     Child Loop BB4_248 Depth 2
                                        ;     Child Loop BB4_253 Depth 2
                                        ;     Child Loop BB4_117 Depth 2
                                        ;       Child Loop BB4_120 Depth 3
                                        ;       Child Loop BB4_127 Depth 3
                                        ;       Child Loop BB4_135 Depth 3
                                        ;       Child Loop BB4_143 Depth 3
                                        ;       Child Loop BB4_151 Depth 3
                                        ;       Child Loop BB4_159 Depth 3
                                        ;       Child Loop BB4_167 Depth 3
                                        ;       Child Loop BB4_175 Depth 3
                                        ;       Child Loop BB4_183 Depth 3
                                        ;       Child Loop BB4_192 Depth 3
                                        ;       Child Loop BB4_197 Depth 3
                                        ;     Child Loop BB4_258 Depth 2
                                        ;     Child Loop BB4_266 Depth 2
                                        ;     Child Loop BB4_275 Depth 2
                                        ;     Child Loop BB4_280 Depth 2
                                        ;     Child Loop BB4_284 Depth 2
                                        ;     Child Loop BB4_292 Depth 2
                                        ;     Child Loop BB4_301 Depth 2
                                        ;     Child Loop BB4_306 Depth 2
                                        ;     Child Loop BB4_481 Depth 2
                                        ;     Child Loop BB4_489 Depth 2
                                        ;     Child Loop BB4_498 Depth 2
                                        ;     Child Loop BB4_503 Depth 2
                                        ;     Child Loop BB4_310 Depth 2
                                        ;       Child Loop BB4_313 Depth 3
                                        ;       Child Loop BB4_320 Depth 3
                                        ;       Child Loop BB4_328 Depth 3
                                        ;       Child Loop BB4_336 Depth 3
                                        ;       Child Loop BB4_344 Depth 3
                                        ;       Child Loop BB4_352 Depth 3
                                        ;       Child Loop BB4_360 Depth 3
                                        ;       Child Loop BB4_368 Depth 3
                                        ;       Child Loop BB4_376 Depth 3
                                        ;       Child Loop BB4_385 Depth 3
                                        ;       Child Loop BB4_390 Depth 3
                                        ;     Child Loop BB4_509 Depth 2
                                        ;     Child Loop BB4_517 Depth 2
                                        ;     Child Loop BB4_526 Depth 2
                                        ;     Child Loop BB4_531 Depth 2
                                        ;     Child Loop BB4_395 Depth 2
                                        ;       Child Loop BB4_398 Depth 3
                                        ;       Child Loop BB4_405 Depth 3
                                        ;       Child Loop BB4_413 Depth 3
                                        ;       Child Loop BB4_421 Depth 3
                                        ;       Child Loop BB4_429 Depth 3
                                        ;       Child Loop BB4_437 Depth 3
                                        ;       Child Loop BB4_445 Depth 3
                                        ;       Child Loop BB4_453 Depth 3
                                        ;       Child Loop BB4_461 Depth 3
                                        ;       Child Loop BB4_470 Depth 3
                                        ;       Child Loop BB4_475 Depth 3
                                        ;     Child Loop BB4_536 Depth 2
                                        ;     Child Loop BB4_544 Depth 2
                                        ;     Child Loop BB4_553 Depth 2
                                        ;     Child Loop BB4_558 Depth 2
	;; [unrolled: 40-line block ×4, first 2 shown]
	v_readfirstlane_b32 s0, v40
	v_cmp_eq_u32_e64 s[0:1], s0, v40
	v_pk_mov_b32 v[4:5], 0, 0
	s_and_saveexec_b64 s[14:15], s[0:1]
	s_cbranch_execz .LBB4_9
; %bb.4:                                ;   in Loop: Header=BB4_3 Depth=1
	s_waitcnt lgkmcnt(0)
	global_load_dwordx2 v[10:11], v43, s[2:3] offset:24 glc
	s_waitcnt vmcnt(0)
	buffer_invl2
	buffer_wbinvl1_vol
	global_load_dwordx2 v[4:5], v43, s[2:3] offset:40
	global_load_dwordx2 v[8:9], v43, s[2:3]
	s_waitcnt vmcnt(1)
	v_and_b32_e32 v1, v4, v10
	v_and_b32_e32 v2, v5, v11
	v_mul_lo_u32 v2, v2, 24
	v_mul_hi_u32 v4, v1, 24
	v_mul_lo_u32 v1, v1, 24
	v_add_u32_e32 v2, v4, v2
	s_waitcnt vmcnt(0)
	v_add_co_u32_e32 v4, vcc, v8, v1
	v_addc_co_u32_e32 v5, vcc, v9, v2, vcc
	global_load_dwordx2 v[8:9], v[4:5], off glc
	s_waitcnt vmcnt(0)
	global_atomic_cmpswap_x2 v[4:5], v43, v[8:11], s[2:3] offset:24 glc
	s_waitcnt vmcnt(0)
	buffer_invl2
	buffer_wbinvl1_vol
	v_cmp_ne_u64_e32 vcc, v[4:5], v[10:11]
	s_and_saveexec_b64 s[16:17], vcc
	s_cbranch_execz .LBB4_8
; %bb.5:                                ;   in Loop: Header=BB4_3 Depth=1
	s_mov_b64 s[18:19], 0
.LBB4_6:                                ;   Parent Loop BB4_3 Depth=1
                                        ; =>  This Inner Loop Header: Depth=2
	s_sleep 1
	global_load_dwordx2 v[8:9], v43, s[2:3] offset:40
	global_load_dwordx2 v[12:13], v43, s[2:3]
	v_pk_mov_b32 v[10:11], v[4:5], v[4:5] op_sel:[0,1]
	s_waitcnt vmcnt(1)
	v_and_b32_e32 v2, v8, v10
	s_waitcnt vmcnt(0)
	v_mad_u64_u32 v[4:5], s[20:21], v2, 24, v[12:13]
	v_and_b32_e32 v1, v9, v11
	v_mov_b32_e32 v2, v5
	v_mad_u64_u32 v[8:9], s[20:21], v1, 24, v[2:3]
	v_mov_b32_e32 v5, v8
	global_load_dwordx2 v[8:9], v[4:5], off glc
	s_waitcnt vmcnt(0)
	global_atomic_cmpswap_x2 v[4:5], v43, v[8:11], s[2:3] offset:24 glc
	s_waitcnt vmcnt(0)
	buffer_invl2
	buffer_wbinvl1_vol
	v_cmp_eq_u64_e32 vcc, v[4:5], v[10:11]
	s_or_b64 s[18:19], vcc, s[18:19]
	s_andn2_b64 exec, exec, s[18:19]
	s_cbranch_execnz .LBB4_6
; %bb.7:                                ;   in Loop: Header=BB4_3 Depth=1
	s_or_b64 exec, exec, s[18:19]
.LBB4_8:                                ;   in Loop: Header=BB4_3 Depth=1
	s_or_b64 exec, exec, s[16:17]
.LBB4_9:                                ;   in Loop: Header=BB4_3 Depth=1
	s_or_b64 exec, exec, s[14:15]
	s_waitcnt lgkmcnt(0)
	global_load_dwordx2 v[12:13], v43, s[2:3] offset:40
	global_load_dwordx4 v[8:11], v43, s[2:3]
	v_readfirstlane_b32 s14, v4
	v_readfirstlane_b32 s15, v5
	s_mov_b64 s[16:17], exec
	s_waitcnt vmcnt(1)
	v_readfirstlane_b32 s18, v12
	v_readfirstlane_b32 s19, v13
	s_and_b64 s[18:19], s[14:15], s[18:19]
	s_mul_i32 s20, s19, 24
	s_mul_hi_u32 s21, s18, 24
	s_mul_i32 s22, s18, 24
	s_add_i32 s20, s21, s20
	v_mov_b32_e32 v1, s20
	s_waitcnt vmcnt(0)
	v_add_co_u32_e32 v12, vcc, s22, v8
	v_addc_co_u32_e32 v13, vcc, v9, v1, vcc
	s_and_saveexec_b64 s[20:21], s[0:1]
	s_cbranch_execz .LBB4_11
; %bb.10:                               ;   in Loop: Header=BB4_3 Depth=1
	v_pk_mov_b32 v[4:5], s[16:17], s[16:17] op_sel:[0,1]
	global_store_dwordx4 v[12:13], v[4:7], off offset:8
.LBB4_11:                               ;   in Loop: Header=BB4_3 Depth=1
	s_or_b64 exec, exec, s[20:21]
	s_lshl_b64 s[16:17], s[18:19], 12
	v_mov_b32_e32 v1, s17
	v_add_co_u32_e32 v4, vcc, s16, v10
	v_addc_co_u32_e32 v5, vcc, v11, v1, vcc
	v_pk_mov_b32 v[16:17], s[10:11], s[10:11] op_sel:[0,1]
	v_mov_b32_e32 v1, v3
	v_mov_b32_e32 v2, v3
	v_readfirstlane_b32 s16, v4
	v_readfirstlane_b32 s17, v5
	v_pk_mov_b32 v[14:15], s[8:9], s[8:9] op_sel:[0,1]
	s_nop 3
	global_store_dwordx4 v45, v[0:3], s[16:17]
	global_store_dwordx4 v45, v[14:17], s[16:17] offset:16
	global_store_dwordx4 v45, v[14:17], s[16:17] offset:32
	;; [unrolled: 1-line block ×3, first 2 shown]
	s_and_saveexec_b64 s[16:17], s[0:1]
	s_cbranch_execz .LBB4_19
; %bb.12:                               ;   in Loop: Header=BB4_3 Depth=1
	global_load_dwordx2 v[18:19], v43, s[2:3] offset:32 glc
	global_load_dwordx2 v[10:11], v43, s[2:3] offset:40
	v_mov_b32_e32 v16, s14
	v_mov_b32_e32 v17, s15
	s_waitcnt vmcnt(0)
	v_readfirstlane_b32 s18, v10
	v_readfirstlane_b32 s19, v11
	s_and_b64 s[18:19], s[18:19], s[14:15]
	s_mul_i32 s19, s19, 24
	s_mul_hi_u32 s20, s18, 24
	s_mul_i32 s18, s18, 24
	s_add_i32 s19, s20, s19
	v_mov_b32_e32 v1, s19
	v_add_co_u32_e32 v14, vcc, s18, v8
	v_addc_co_u32_e32 v15, vcc, v9, v1, vcc
	global_store_dwordx2 v[14:15], v[18:19], off
	buffer_wbl2
	s_waitcnt vmcnt(0)
	global_atomic_cmpswap_x2 v[10:11], v43, v[16:19], s[2:3] offset:32 glc
	s_waitcnt vmcnt(0)
	v_cmp_ne_u64_e32 vcc, v[10:11], v[18:19]
	s_and_saveexec_b64 s[18:19], vcc
	s_cbranch_execz .LBB4_15
; %bb.13:                               ;   in Loop: Header=BB4_3 Depth=1
	s_mov_b64 s[20:21], 0
.LBB4_14:                               ;   Parent Loop BB4_3 Depth=1
                                        ; =>  This Inner Loop Header: Depth=2
	s_sleep 1
	global_store_dwordx2 v[14:15], v[10:11], off
	v_mov_b32_e32 v8, s14
	v_mov_b32_e32 v9, s15
	buffer_wbl2
	s_waitcnt vmcnt(0)
	global_atomic_cmpswap_x2 v[8:9], v43, v[8:11], s[2:3] offset:32 glc
	s_waitcnt vmcnt(0)
	v_cmp_eq_u64_e32 vcc, v[8:9], v[10:11]
	s_or_b64 s[20:21], vcc, s[20:21]
	v_pk_mov_b32 v[10:11], v[8:9], v[8:9] op_sel:[0,1]
	s_andn2_b64 exec, exec, s[20:21]
	s_cbranch_execnz .LBB4_14
.LBB4_15:                               ;   in Loop: Header=BB4_3 Depth=1
	s_or_b64 exec, exec, s[18:19]
	global_load_dwordx2 v[8:9], v43, s[2:3] offset:16
	s_mov_b64 s[20:21], exec
	v_mbcnt_lo_u32_b32 v1, s20, 0
	v_mbcnt_hi_u32_b32 v1, s21, v1
	v_cmp_eq_u32_e32 vcc, 0, v1
	s_and_saveexec_b64 s[18:19], vcc
	s_cbranch_execz .LBB4_17
; %bb.16:                               ;   in Loop: Header=BB4_3 Depth=1
	s_bcnt1_i32_b64 s20, s[20:21]
	v_mov_b32_e32 v2, s20
	buffer_wbl2
	s_waitcnt vmcnt(0)
	global_atomic_add_x2 v[8:9], v[2:3], off offset:8
.LBB4_17:                               ;   in Loop: Header=BB4_3 Depth=1
	s_or_b64 exec, exec, s[18:19]
	s_waitcnt vmcnt(0)
	global_load_dwordx2 v[10:11], v[8:9], off offset:16
	s_waitcnt vmcnt(0)
	v_cmp_eq_u64_e32 vcc, 0, v[10:11]
	s_cbranch_vccnz .LBB4_19
; %bb.18:                               ;   in Loop: Header=BB4_3 Depth=1
	global_load_dword v42, v[8:9], off offset:24
	s_waitcnt vmcnt(0)
	v_and_b32_e32 v1, 0xffffff, v42
	v_readfirstlane_b32 m0, v1
	buffer_wbl2
	global_store_dwordx2 v[10:11], v[42:43], off
	s_sendmsg sendmsg(MSG_INTERRUPT)
.LBB4_19:                               ;   in Loop: Header=BB4_3 Depth=1
	s_or_b64 exec, exec, s[16:17]
	v_add_co_u32_e32 v4, vcc, v4, v45
	v_addc_co_u32_e32 v5, vcc, 0, v5, vcc
	s_branch .LBB4_23
.LBB4_20:                               ;   in Loop: Header=BB4_23 Depth=2
	s_or_b64 exec, exec, s[16:17]
	v_readfirstlane_b32 s16, v1
	s_cmp_eq_u32 s16, 0
	s_cbranch_scc1 .LBB4_22
; %bb.21:                               ;   in Loop: Header=BB4_23 Depth=2
	s_sleep 1
	s_cbranch_execnz .LBB4_23
	s_branch .LBB4_25
.LBB4_22:                               ;   in Loop: Header=BB4_3 Depth=1
	s_branch .LBB4_25
.LBB4_23:                               ;   Parent Loop BB4_3 Depth=1
                                        ; =>  This Inner Loop Header: Depth=2
	v_mov_b32_e32 v1, 1
	s_and_saveexec_b64 s[16:17], s[0:1]
	s_cbranch_execz .LBB4_20
; %bb.24:                               ;   in Loop: Header=BB4_23 Depth=2
	global_load_dword v1, v[12:13], off offset:20 glc
	s_waitcnt vmcnt(0)
	buffer_invl2
	buffer_wbinvl1_vol
	v_and_b32_e32 v1, 1, v1
	s_branch .LBB4_20
.LBB4_25:                               ;   in Loop: Header=BB4_3 Depth=1
	global_load_dwordx2 v[8:9], v[4:5], off
	s_and_saveexec_b64 s[16:17], s[0:1]
	s_cbranch_execz .LBB4_29
; %bb.26:                               ;   in Loop: Header=BB4_3 Depth=1
	global_load_dwordx2 v[4:5], v43, s[2:3] offset:40
	global_load_dwordx2 v[14:15], v43, s[2:3] offset:24 glc
	global_load_dwordx2 v[16:17], v43, s[2:3]
	v_mov_b32_e32 v1, s15
	s_waitcnt vmcnt(2)
	v_add_co_u32_e32 v2, vcc, 1, v4
	v_addc_co_u32_e32 v13, vcc, 0, v5, vcc
	v_add_co_u32_e32 v10, vcc, s14, v2
	v_addc_co_u32_e32 v11, vcc, v13, v1, vcc
	v_cmp_eq_u64_e32 vcc, 0, v[10:11]
	v_cndmask_b32_e32 v11, v11, v13, vcc
	v_cndmask_b32_e32 v10, v10, v2, vcc
	v_and_b32_e32 v1, v11, v5
	v_and_b32_e32 v2, v10, v4
	v_mul_lo_u32 v1, v1, 24
	v_mul_hi_u32 v4, v2, 24
	v_mul_lo_u32 v2, v2, 24
	v_add_u32_e32 v1, v4, v1
	s_waitcnt vmcnt(0)
	v_add_co_u32_e32 v4, vcc, v16, v2
	v_addc_co_u32_e32 v5, vcc, v17, v1, vcc
	v_mov_b32_e32 v12, v14
	global_store_dwordx2 v[4:5], v[14:15], off
	v_mov_b32_e32 v13, v15
	buffer_wbl2
	s_waitcnt vmcnt(0)
	global_atomic_cmpswap_x2 v[12:13], v43, v[10:13], s[2:3] offset:24 glc
	s_waitcnt vmcnt(0)
	v_cmp_ne_u64_e32 vcc, v[12:13], v[14:15]
	s_and_b64 exec, exec, vcc
	s_cbranch_execz .LBB4_29
; %bb.27:                               ;   in Loop: Header=BB4_3 Depth=1
	s_mov_b64 s[0:1], 0
.LBB4_28:                               ;   Parent Loop BB4_3 Depth=1
                                        ; =>  This Inner Loop Header: Depth=2
	s_sleep 1
	global_store_dwordx2 v[4:5], v[12:13], off
	buffer_wbl2
	s_waitcnt vmcnt(0)
	global_atomic_cmpswap_x2 v[14:15], v43, v[10:13], s[2:3] offset:24 glc
	s_waitcnt vmcnt(0)
	v_cmp_eq_u64_e32 vcc, v[14:15], v[12:13]
	s_or_b64 s[0:1], vcc, s[0:1]
	v_pk_mov_b32 v[12:13], v[14:15], v[14:15] op_sel:[0,1]
	s_andn2_b64 exec, exec, s[0:1]
	s_cbranch_execnz .LBB4_28
.LBB4_29:                               ;   in Loop: Header=BB4_3 Depth=1
	s_or_b64 exec, exec, s[16:17]
	s_and_b64 vcc, exec, s[6:7]
	s_cbranch_vccz .LBB4_199
; %bb.30:                               ;   in Loop: Header=BB4_3 Depth=1
	s_waitcnt vmcnt(0)
	v_and_b32_e32 v32, 2, v8
	v_and_b32_e32 v12, -3, v8
	v_mov_b32_e32 v13, v9
	s_mov_b64 s[16:17], 6
	s_getpc_b64 s[14:15]
	s_add_u32 s14, s14, .str.7@rel32@lo+4
	s_addc_u32 s15, s15, .str.7@rel32@hi+12
	s_branch .LBB4_32
.LBB4_31:                               ;   in Loop: Header=BB4_32 Depth=2
	s_or_b64 exec, exec, s[22:23]
	s_sub_u32 s16, s16, s18
	s_subb_u32 s17, s17, s19
	s_add_u32 s14, s14, s18
	s_addc_u32 s15, s15, s19
	s_cmp_lg_u64 s[16:17], 0
	s_cbranch_scc0 .LBB4_113
.LBB4_32:                               ;   Parent Loop BB4_3 Depth=1
                                        ; =>  This Loop Header: Depth=2
                                        ;       Child Loop BB4_35 Depth 3
                                        ;       Child Loop BB4_42 Depth 3
	;; [unrolled: 1-line block ×11, first 2 shown]
	v_cmp_lt_u64_e64 s[0:1], s[16:17], 56
	s_and_b64 s[0:1], s[0:1], exec
	v_cmp_gt_u64_e64 s[0:1], s[16:17], 7
	s_cselect_b32 s19, s17, 0
	s_cselect_b32 s18, s16, 56
	s_and_b64 vcc, exec, s[0:1]
	s_cbranch_vccnz .LBB4_37
; %bb.33:                               ;   in Loop: Header=BB4_32 Depth=2
	s_mov_b64 s[0:1], 0
	s_cmp_eq_u64 s[16:17], 0
	s_waitcnt vmcnt(0)
	v_pk_mov_b32 v[14:15], 0, 0
	s_cbranch_scc1 .LBB4_36
; %bb.34:                               ;   in Loop: Header=BB4_32 Depth=2
	s_lshl_b64 s[20:21], s[18:19], 3
	s_mov_b64 s[22:23], 0
	v_pk_mov_b32 v[14:15], 0, 0
	s_mov_b64 s[24:25], s[14:15]
.LBB4_35:                               ;   Parent Loop BB4_3 Depth=1
                                        ;     Parent Loop BB4_32 Depth=2
                                        ; =>    This Inner Loop Header: Depth=3
	global_load_ubyte v1, v43, s[24:25]
	s_waitcnt vmcnt(0)
	v_and_b32_e32 v42, 0xffff, v1
	v_lshlrev_b64 v[4:5], s22, v[42:43]
	s_add_u32 s22, s22, 8
	s_addc_u32 s23, s23, 0
	s_add_u32 s24, s24, 1
	s_addc_u32 s25, s25, 0
	v_or_b32_e32 v14, v4, v14
	s_cmp_lg_u32 s20, s22
	v_or_b32_e32 v15, v5, v15
	s_cbranch_scc1 .LBB4_35
.LBB4_36:                               ;   in Loop: Header=BB4_32 Depth=2
	s_mov_b32 s24, 0
	s_andn2_b64 vcc, exec, s[0:1]
	s_mov_b64 s[0:1], s[14:15]
	s_cbranch_vccz .LBB4_38
	s_branch .LBB4_39
.LBB4_37:                               ;   in Loop: Header=BB4_32 Depth=2
                                        ; implicit-def: $vgpr14_vgpr15
                                        ; implicit-def: $sgpr24
	s_mov_b64 s[0:1], s[14:15]
.LBB4_38:                               ;   in Loop: Header=BB4_32 Depth=2
	global_load_dwordx2 v[14:15], v43, s[14:15]
	s_add_i32 s24, s18, -8
	s_add_u32 s0, s14, 8
	s_addc_u32 s1, s15, 0
.LBB4_39:                               ;   in Loop: Header=BB4_32 Depth=2
	s_cmp_gt_u32 s24, 7
	s_cbranch_scc1 .LBB4_43
; %bb.40:                               ;   in Loop: Header=BB4_32 Depth=2
	s_cmp_eq_u32 s24, 0
	s_cbranch_scc1 .LBB4_44
; %bb.41:                               ;   in Loop: Header=BB4_32 Depth=2
	s_mov_b64 s[20:21], 0
	v_pk_mov_b32 v[16:17], 0, 0
	s_mov_b64 s[22:23], 0
.LBB4_42:                               ;   Parent Loop BB4_3 Depth=1
                                        ;     Parent Loop BB4_32 Depth=2
                                        ; =>    This Inner Loop Header: Depth=3
	s_add_u32 s26, s0, s22
	s_addc_u32 s27, s1, s23
	global_load_ubyte v1, v43, s[26:27]
	s_add_u32 s22, s22, 1
	s_addc_u32 s23, s23, 0
	s_waitcnt vmcnt(0)
	v_and_b32_e32 v42, 0xffff, v1
	v_lshlrev_b64 v[4:5], s20, v[42:43]
	s_add_u32 s20, s20, 8
	s_addc_u32 s21, s21, 0
	v_or_b32_e32 v16, v4, v16
	s_cmp_lg_u32 s24, s22
	v_or_b32_e32 v17, v5, v17
	s_cbranch_scc1 .LBB4_42
	s_branch .LBB4_45
.LBB4_43:                               ;   in Loop: Header=BB4_32 Depth=2
                                        ; implicit-def: $vgpr16_vgpr17
                                        ; implicit-def: $sgpr25
	s_branch .LBB4_46
.LBB4_44:                               ;   in Loop: Header=BB4_32 Depth=2
	v_pk_mov_b32 v[16:17], 0, 0
.LBB4_45:                               ;   in Loop: Header=BB4_32 Depth=2
	s_mov_b32 s25, 0
	s_cbranch_execnz .LBB4_47
.LBB4_46:                               ;   in Loop: Header=BB4_32 Depth=2
	global_load_dwordx2 v[16:17], v43, s[0:1]
	s_add_i32 s25, s24, -8
	s_add_u32 s0, s0, 8
	s_addc_u32 s1, s1, 0
.LBB4_47:                               ;   in Loop: Header=BB4_32 Depth=2
	s_cmp_gt_u32 s25, 7
	s_cbranch_scc1 .LBB4_51
; %bb.48:                               ;   in Loop: Header=BB4_32 Depth=2
	s_cmp_eq_u32 s25, 0
	s_cbranch_scc1 .LBB4_52
; %bb.49:                               ;   in Loop: Header=BB4_32 Depth=2
	s_mov_b64 s[20:21], 0
	v_pk_mov_b32 v[18:19], 0, 0
	s_mov_b64 s[22:23], 0
.LBB4_50:                               ;   Parent Loop BB4_3 Depth=1
                                        ;     Parent Loop BB4_32 Depth=2
                                        ; =>    This Inner Loop Header: Depth=3
	s_add_u32 s26, s0, s22
	s_addc_u32 s27, s1, s23
	global_load_ubyte v1, v43, s[26:27]
	s_add_u32 s22, s22, 1
	s_addc_u32 s23, s23, 0
	s_waitcnt vmcnt(0)
	v_and_b32_e32 v42, 0xffff, v1
	v_lshlrev_b64 v[4:5], s20, v[42:43]
	s_add_u32 s20, s20, 8
	s_addc_u32 s21, s21, 0
	v_or_b32_e32 v18, v4, v18
	s_cmp_lg_u32 s25, s22
	v_or_b32_e32 v19, v5, v19
	s_cbranch_scc1 .LBB4_50
	s_branch .LBB4_53
.LBB4_51:                               ;   in Loop: Header=BB4_32 Depth=2
                                        ; implicit-def: $sgpr24
	s_branch .LBB4_54
.LBB4_52:                               ;   in Loop: Header=BB4_32 Depth=2
	v_pk_mov_b32 v[18:19], 0, 0
.LBB4_53:                               ;   in Loop: Header=BB4_32 Depth=2
	s_mov_b32 s24, 0
	s_cbranch_execnz .LBB4_55
.LBB4_54:                               ;   in Loop: Header=BB4_32 Depth=2
	global_load_dwordx2 v[18:19], v43, s[0:1]
	s_add_i32 s24, s25, -8
	s_add_u32 s0, s0, 8
	s_addc_u32 s1, s1, 0
.LBB4_55:                               ;   in Loop: Header=BB4_32 Depth=2
	s_cmp_gt_u32 s24, 7
	s_cbranch_scc1 .LBB4_59
; %bb.56:                               ;   in Loop: Header=BB4_32 Depth=2
	s_cmp_eq_u32 s24, 0
	s_cbranch_scc1 .LBB4_60
; %bb.57:                               ;   in Loop: Header=BB4_32 Depth=2
	s_mov_b64 s[20:21], 0
	v_pk_mov_b32 v[20:21], 0, 0
	s_mov_b64 s[22:23], 0
.LBB4_58:                               ;   Parent Loop BB4_3 Depth=1
                                        ;     Parent Loop BB4_32 Depth=2
                                        ; =>    This Inner Loop Header: Depth=3
	s_add_u32 s26, s0, s22
	s_addc_u32 s27, s1, s23
	global_load_ubyte v1, v43, s[26:27]
	s_add_u32 s22, s22, 1
	s_addc_u32 s23, s23, 0
	s_waitcnt vmcnt(0)
	v_and_b32_e32 v42, 0xffff, v1
	v_lshlrev_b64 v[4:5], s20, v[42:43]
	s_add_u32 s20, s20, 8
	s_addc_u32 s21, s21, 0
	v_or_b32_e32 v20, v4, v20
	s_cmp_lg_u32 s24, s22
	v_or_b32_e32 v21, v5, v21
	s_cbranch_scc1 .LBB4_58
	s_branch .LBB4_61
.LBB4_59:                               ;   in Loop: Header=BB4_32 Depth=2
                                        ; implicit-def: $vgpr20_vgpr21
                                        ; implicit-def: $sgpr25
	s_branch .LBB4_62
.LBB4_60:                               ;   in Loop: Header=BB4_32 Depth=2
	v_pk_mov_b32 v[20:21], 0, 0
.LBB4_61:                               ;   in Loop: Header=BB4_32 Depth=2
	s_mov_b32 s25, 0
	s_cbranch_execnz .LBB4_63
.LBB4_62:                               ;   in Loop: Header=BB4_32 Depth=2
	global_load_dwordx2 v[20:21], v43, s[0:1]
	s_add_i32 s25, s24, -8
	s_add_u32 s0, s0, 8
	s_addc_u32 s1, s1, 0
.LBB4_63:                               ;   in Loop: Header=BB4_32 Depth=2
	s_cmp_gt_u32 s25, 7
	s_cbranch_scc1 .LBB4_67
; %bb.64:                               ;   in Loop: Header=BB4_32 Depth=2
	s_cmp_eq_u32 s25, 0
	s_cbranch_scc1 .LBB4_68
; %bb.65:                               ;   in Loop: Header=BB4_32 Depth=2
	s_mov_b64 s[20:21], 0
	v_pk_mov_b32 v[22:23], 0, 0
	s_mov_b64 s[22:23], 0
.LBB4_66:                               ;   Parent Loop BB4_3 Depth=1
                                        ;     Parent Loop BB4_32 Depth=2
                                        ; =>    This Inner Loop Header: Depth=3
	s_add_u32 s26, s0, s22
	s_addc_u32 s27, s1, s23
	global_load_ubyte v1, v43, s[26:27]
	s_add_u32 s22, s22, 1
	s_addc_u32 s23, s23, 0
	s_waitcnt vmcnt(0)
	v_and_b32_e32 v42, 0xffff, v1
	v_lshlrev_b64 v[4:5], s20, v[42:43]
	s_add_u32 s20, s20, 8
	s_addc_u32 s21, s21, 0
	v_or_b32_e32 v22, v4, v22
	s_cmp_lg_u32 s25, s22
	v_or_b32_e32 v23, v5, v23
	s_cbranch_scc1 .LBB4_66
	s_branch .LBB4_69
.LBB4_67:                               ;   in Loop: Header=BB4_32 Depth=2
                                        ; implicit-def: $sgpr24
	s_branch .LBB4_70
.LBB4_68:                               ;   in Loop: Header=BB4_32 Depth=2
	v_pk_mov_b32 v[22:23], 0, 0
.LBB4_69:                               ;   in Loop: Header=BB4_32 Depth=2
	s_mov_b32 s24, 0
	s_cbranch_execnz .LBB4_71
.LBB4_70:                               ;   in Loop: Header=BB4_32 Depth=2
	global_load_dwordx2 v[22:23], v43, s[0:1]
	s_add_i32 s24, s25, -8
	s_add_u32 s0, s0, 8
	s_addc_u32 s1, s1, 0
.LBB4_71:                               ;   in Loop: Header=BB4_32 Depth=2
	s_cmp_gt_u32 s24, 7
	s_cbranch_scc1 .LBB4_75
; %bb.72:                               ;   in Loop: Header=BB4_32 Depth=2
	s_cmp_eq_u32 s24, 0
	s_cbranch_scc1 .LBB4_76
; %bb.73:                               ;   in Loop: Header=BB4_32 Depth=2
	s_mov_b64 s[20:21], 0
	v_pk_mov_b32 v[24:25], 0, 0
	s_mov_b64 s[22:23], 0
.LBB4_74:                               ;   Parent Loop BB4_3 Depth=1
                                        ;     Parent Loop BB4_32 Depth=2
                                        ; =>    This Inner Loop Header: Depth=3
	s_add_u32 s26, s0, s22
	s_addc_u32 s27, s1, s23
	global_load_ubyte v1, v43, s[26:27]
	s_add_u32 s22, s22, 1
	s_addc_u32 s23, s23, 0
	s_waitcnt vmcnt(0)
	v_and_b32_e32 v42, 0xffff, v1
	v_lshlrev_b64 v[4:5], s20, v[42:43]
	s_add_u32 s20, s20, 8
	s_addc_u32 s21, s21, 0
	v_or_b32_e32 v24, v4, v24
	s_cmp_lg_u32 s24, s22
	v_or_b32_e32 v25, v5, v25
	s_cbranch_scc1 .LBB4_74
	s_branch .LBB4_77
.LBB4_75:                               ;   in Loop: Header=BB4_32 Depth=2
                                        ; implicit-def: $vgpr24_vgpr25
                                        ; implicit-def: $sgpr25
	s_branch .LBB4_78
.LBB4_76:                               ;   in Loop: Header=BB4_32 Depth=2
	v_pk_mov_b32 v[24:25], 0, 0
.LBB4_77:                               ;   in Loop: Header=BB4_32 Depth=2
	s_mov_b32 s25, 0
	s_cbranch_execnz .LBB4_79
.LBB4_78:                               ;   in Loop: Header=BB4_32 Depth=2
	global_load_dwordx2 v[24:25], v43, s[0:1]
	s_add_i32 s25, s24, -8
	s_add_u32 s0, s0, 8
	s_addc_u32 s1, s1, 0
.LBB4_79:                               ;   in Loop: Header=BB4_32 Depth=2
	s_cmp_gt_u32 s25, 7
	s_cbranch_scc1 .LBB4_83
; %bb.80:                               ;   in Loop: Header=BB4_32 Depth=2
	s_cmp_eq_u32 s25, 0
	s_cbranch_scc1 .LBB4_84
; %bb.81:                               ;   in Loop: Header=BB4_32 Depth=2
	s_mov_b64 s[20:21], 0
	v_pk_mov_b32 v[26:27], 0, 0
	s_mov_b64 s[22:23], s[0:1]
.LBB4_82:                               ;   Parent Loop BB4_3 Depth=1
                                        ;     Parent Loop BB4_32 Depth=2
                                        ; =>    This Inner Loop Header: Depth=3
	global_load_ubyte v1, v43, s[22:23]
	s_add_i32 s25, s25, -1
	s_waitcnt vmcnt(0)
	v_and_b32_e32 v42, 0xffff, v1
	v_lshlrev_b64 v[4:5], s20, v[42:43]
	s_add_u32 s20, s20, 8
	s_addc_u32 s21, s21, 0
	s_add_u32 s22, s22, 1
	s_addc_u32 s23, s23, 0
	v_or_b32_e32 v26, v4, v26
	s_cmp_lg_u32 s25, 0
	v_or_b32_e32 v27, v5, v27
	s_cbranch_scc1 .LBB4_82
	s_branch .LBB4_85
.LBB4_83:                               ;   in Loop: Header=BB4_32 Depth=2
	s_branch .LBB4_86
.LBB4_84:                               ;   in Loop: Header=BB4_32 Depth=2
	v_pk_mov_b32 v[26:27], 0, 0
.LBB4_85:                               ;   in Loop: Header=BB4_32 Depth=2
	s_cbranch_execnz .LBB4_87
.LBB4_86:                               ;   in Loop: Header=BB4_32 Depth=2
	global_load_dwordx2 v[26:27], v43, s[0:1]
.LBB4_87:                               ;   in Loop: Header=BB4_32 Depth=2
	v_readfirstlane_b32 s0, v40
	v_cmp_eq_u32_e64 s[0:1], s0, v40
	v_pk_mov_b32 v[4:5], 0, 0
	s_and_saveexec_b64 s[20:21], s[0:1]
	s_cbranch_execz .LBB4_93
; %bb.88:                               ;   in Loop: Header=BB4_32 Depth=2
	global_load_dwordx2 v[30:31], v43, s[2:3] offset:24 glc
	s_waitcnt vmcnt(0)
	buffer_invl2
	buffer_wbinvl1_vol
	global_load_dwordx2 v[4:5], v43, s[2:3] offset:40
	global_load_dwordx2 v[10:11], v43, s[2:3]
	s_waitcnt vmcnt(1)
	v_and_b32_e32 v1, v4, v30
	v_and_b32_e32 v2, v5, v31
	v_mul_lo_u32 v2, v2, 24
	v_mul_hi_u32 v4, v1, 24
	v_mul_lo_u32 v1, v1, 24
	v_add_u32_e32 v2, v4, v2
	s_waitcnt vmcnt(0)
	v_add_co_u32_e32 v4, vcc, v10, v1
	v_addc_co_u32_e32 v5, vcc, v11, v2, vcc
	global_load_dwordx2 v[28:29], v[4:5], off glc
	s_waitcnt vmcnt(0)
	global_atomic_cmpswap_x2 v[4:5], v43, v[28:31], s[2:3] offset:24 glc
	s_waitcnt vmcnt(0)
	buffer_invl2
	buffer_wbinvl1_vol
	v_cmp_ne_u64_e32 vcc, v[4:5], v[30:31]
	s_and_saveexec_b64 s[22:23], vcc
	s_cbranch_execz .LBB4_92
; %bb.89:                               ;   in Loop: Header=BB4_32 Depth=2
	s_mov_b64 s[24:25], 0
.LBB4_90:                               ;   Parent Loop BB4_3 Depth=1
                                        ;     Parent Loop BB4_32 Depth=2
                                        ; =>    This Inner Loop Header: Depth=3
	s_sleep 1
	global_load_dwordx2 v[10:11], v43, s[2:3] offset:40
	global_load_dwordx2 v[28:29], v43, s[2:3]
	v_pk_mov_b32 v[30:31], v[4:5], v[4:5] op_sel:[0,1]
	s_waitcnt vmcnt(1)
	v_and_b32_e32 v2, v10, v30
	s_waitcnt vmcnt(0)
	v_mad_u64_u32 v[4:5], s[26:27], v2, 24, v[28:29]
	v_and_b32_e32 v1, v11, v31
	v_mov_b32_e32 v2, v5
	v_mad_u64_u32 v[10:11], s[26:27], v1, 24, v[2:3]
	v_mov_b32_e32 v5, v10
	global_load_dwordx2 v[28:29], v[4:5], off glc
	s_waitcnt vmcnt(0)
	global_atomic_cmpswap_x2 v[4:5], v43, v[28:31], s[2:3] offset:24 glc
	s_waitcnt vmcnt(0)
	buffer_invl2
	buffer_wbinvl1_vol
	v_cmp_eq_u64_e32 vcc, v[4:5], v[30:31]
	s_or_b64 s[24:25], vcc, s[24:25]
	s_andn2_b64 exec, exec, s[24:25]
	s_cbranch_execnz .LBB4_90
; %bb.91:                               ;   in Loop: Header=BB4_32 Depth=2
	s_or_b64 exec, exec, s[24:25]
.LBB4_92:                               ;   in Loop: Header=BB4_32 Depth=2
	s_or_b64 exec, exec, s[22:23]
.LBB4_93:                               ;   in Loop: Header=BB4_32 Depth=2
	s_or_b64 exec, exec, s[20:21]
	global_load_dwordx2 v[10:11], v43, s[2:3] offset:40
	global_load_dwordx4 v[28:31], v43, s[2:3]
	v_readfirstlane_b32 s20, v4
	v_readfirstlane_b32 s21, v5
	s_mov_b64 s[22:23], exec
	s_waitcnt vmcnt(1)
	v_readfirstlane_b32 s24, v10
	v_readfirstlane_b32 s25, v11
	s_and_b64 s[24:25], s[20:21], s[24:25]
	s_mul_i32 s26, s25, 24
	s_mul_hi_u32 s27, s24, 24
	s_mul_i32 s33, s24, 24
	s_add_i32 s26, s27, s26
	v_mov_b32_e32 v1, s26
	s_waitcnt vmcnt(0)
	v_add_co_u32_e32 v34, vcc, s33, v28
	v_addc_co_u32_e32 v35, vcc, v29, v1, vcc
	s_and_saveexec_b64 s[26:27], s[0:1]
	s_cbranch_execz .LBB4_95
; %bb.94:                               ;   in Loop: Header=BB4_32 Depth=2
	v_pk_mov_b32 v[4:5], s[22:23], s[22:23] op_sel:[0,1]
	global_store_dwordx4 v[34:35], v[4:7], off offset:8
.LBB4_95:                               ;   in Loop: Header=BB4_32 Depth=2
	s_or_b64 exec, exec, s[26:27]
	s_lshl_b64 s[22:23], s[24:25], 12
	v_mov_b32_e32 v1, s23
	v_add_co_u32_e32 v4, vcc, s22, v30
	v_addc_co_u32_e32 v1, vcc, v31, v1, vcc
	v_or_b32_e32 v2, 0, v13
	v_or_b32_e32 v5, v12, v32
	v_cmp_gt_u64_e64 vcc, s[16:17], 56
	s_lshl_b32 s22, s18, 2
	v_cndmask_b32_e32 v13, v2, v13, vcc
	v_cndmask_b32_e32 v2, v5, v12, vcc
	s_add_i32 s22, s22, 28
	s_and_b32 s22, s22, 0x1e0
	v_and_b32_e32 v2, 0xffffff1f, v2
	v_or_b32_e32 v12, s22, v2
	v_readfirstlane_b32 s22, v4
	v_readfirstlane_b32 s23, v1
	s_nop 4
	global_store_dwordx4 v45, v[12:15], s[22:23]
	global_store_dwordx4 v45, v[16:19], s[22:23] offset:16
	global_store_dwordx4 v45, v[20:23], s[22:23] offset:32
	;; [unrolled: 1-line block ×3, first 2 shown]
	s_and_saveexec_b64 s[22:23], s[0:1]
	s_cbranch_execz .LBB4_103
; %bb.96:                               ;   in Loop: Header=BB4_32 Depth=2
	global_load_dwordx2 v[18:19], v43, s[2:3] offset:32 glc
	global_load_dwordx2 v[10:11], v43, s[2:3] offset:40
	v_mov_b32_e32 v16, s20
	v_mov_b32_e32 v17, s21
	s_waitcnt vmcnt(0)
	v_readfirstlane_b32 s24, v10
	v_readfirstlane_b32 s25, v11
	s_and_b64 s[24:25], s[24:25], s[20:21]
	s_mul_i32 s25, s25, 24
	s_mul_hi_u32 s26, s24, 24
	s_mul_i32 s24, s24, 24
	s_add_i32 s25, s26, s25
	v_mov_b32_e32 v2, s25
	v_add_co_u32_e32 v14, vcc, s24, v28
	v_addc_co_u32_e32 v15, vcc, v29, v2, vcc
	global_store_dwordx2 v[14:15], v[18:19], off
	buffer_wbl2
	s_waitcnt vmcnt(0)
	global_atomic_cmpswap_x2 v[12:13], v43, v[16:19], s[2:3] offset:32 glc
	s_waitcnt vmcnt(0)
	v_cmp_ne_u64_e32 vcc, v[12:13], v[18:19]
	s_and_saveexec_b64 s[24:25], vcc
	s_cbranch_execz .LBB4_99
; %bb.97:                               ;   in Loop: Header=BB4_32 Depth=2
	s_mov_b64 s[26:27], 0
.LBB4_98:                               ;   Parent Loop BB4_3 Depth=1
                                        ;     Parent Loop BB4_32 Depth=2
                                        ; =>    This Inner Loop Header: Depth=3
	s_sleep 1
	global_store_dwordx2 v[14:15], v[12:13], off
	v_mov_b32_e32 v10, s20
	v_mov_b32_e32 v11, s21
	buffer_wbl2
	s_waitcnt vmcnt(0)
	global_atomic_cmpswap_x2 v[10:11], v43, v[10:13], s[2:3] offset:32 glc
	s_waitcnt vmcnt(0)
	v_cmp_eq_u64_e32 vcc, v[10:11], v[12:13]
	s_or_b64 s[26:27], vcc, s[26:27]
	v_pk_mov_b32 v[12:13], v[10:11], v[10:11] op_sel:[0,1]
	s_andn2_b64 exec, exec, s[26:27]
	s_cbranch_execnz .LBB4_98
.LBB4_99:                               ;   in Loop: Header=BB4_32 Depth=2
	s_or_b64 exec, exec, s[24:25]
	global_load_dwordx2 v[10:11], v43, s[2:3] offset:16
	s_mov_b64 s[26:27], exec
	v_mbcnt_lo_u32_b32 v2, s26, 0
	v_mbcnt_hi_u32_b32 v2, s27, v2
	v_cmp_eq_u32_e32 vcc, 0, v2
	s_and_saveexec_b64 s[24:25], vcc
	s_cbranch_execz .LBB4_101
; %bb.100:                              ;   in Loop: Header=BB4_32 Depth=2
	s_bcnt1_i32_b64 s26, s[26:27]
	v_mov_b32_e32 v2, s26
	buffer_wbl2
	s_waitcnt vmcnt(0)
	global_atomic_add_x2 v[10:11], v[2:3], off offset:8
.LBB4_101:                              ;   in Loop: Header=BB4_32 Depth=2
	s_or_b64 exec, exec, s[24:25]
	s_waitcnt vmcnt(0)
	global_load_dwordx2 v[12:13], v[10:11], off offset:16
	s_waitcnt vmcnt(0)
	v_cmp_eq_u64_e32 vcc, 0, v[12:13]
	s_cbranch_vccnz .LBB4_103
; %bb.102:                              ;   in Loop: Header=BB4_32 Depth=2
	global_load_dword v42, v[10:11], off offset:24
	s_waitcnt vmcnt(0)
	v_and_b32_e32 v2, 0xffffff, v42
	v_readfirstlane_b32 m0, v2
	buffer_wbl2
	global_store_dwordx2 v[12:13], v[42:43], off
	s_sendmsg sendmsg(MSG_INTERRUPT)
.LBB4_103:                              ;   in Loop: Header=BB4_32 Depth=2
	s_or_b64 exec, exec, s[22:23]
	v_add_co_u32_e32 v4, vcc, v4, v45
	v_addc_co_u32_e32 v5, vcc, 0, v1, vcc
	s_branch .LBB4_107
.LBB4_104:                              ;   in Loop: Header=BB4_107 Depth=3
	s_or_b64 exec, exec, s[22:23]
	v_readfirstlane_b32 s22, v1
	s_cmp_eq_u32 s22, 0
	s_cbranch_scc1 .LBB4_106
; %bb.105:                              ;   in Loop: Header=BB4_107 Depth=3
	s_sleep 1
	s_cbranch_execnz .LBB4_107
	s_branch .LBB4_109
.LBB4_106:                              ;   in Loop: Header=BB4_32 Depth=2
	s_branch .LBB4_109
.LBB4_107:                              ;   Parent Loop BB4_3 Depth=1
                                        ;     Parent Loop BB4_32 Depth=2
                                        ; =>    This Inner Loop Header: Depth=3
	v_mov_b32_e32 v1, 1
	s_and_saveexec_b64 s[22:23], s[0:1]
	s_cbranch_execz .LBB4_104
; %bb.108:                              ;   in Loop: Header=BB4_107 Depth=3
	global_load_dword v1, v[34:35], off offset:20 glc
	s_waitcnt vmcnt(0)
	buffer_invl2
	buffer_wbinvl1_vol
	v_and_b32_e32 v1, 1, v1
	s_branch .LBB4_104
.LBB4_109:                              ;   in Loop: Header=BB4_32 Depth=2
	global_load_dwordx4 v[12:15], v[4:5], off
	s_and_saveexec_b64 s[22:23], s[0:1]
	s_cbranch_execz .LBB4_31
; %bb.110:                              ;   in Loop: Header=BB4_32 Depth=2
	global_load_dwordx2 v[4:5], v43, s[2:3] offset:40
	global_load_dwordx2 v[10:11], v43, s[2:3] offset:24 glc
	global_load_dwordx2 v[18:19], v43, s[2:3]
	v_mov_b32_e32 v1, s21
	s_waitcnt vmcnt(2)
	v_add_co_u32_e32 v2, vcc, 1, v4
	v_addc_co_u32_e32 v17, vcc, 0, v5, vcc
	v_add_co_u32_e32 v14, vcc, s20, v2
	v_addc_co_u32_e32 v15, vcc, v17, v1, vcc
	v_cmp_eq_u64_e32 vcc, 0, v[14:15]
	v_cndmask_b32_e32 v15, v15, v17, vcc
	v_cndmask_b32_e32 v14, v14, v2, vcc
	v_and_b32_e32 v1, v15, v5
	v_and_b32_e32 v2, v14, v4
	v_mul_lo_u32 v1, v1, 24
	v_mul_hi_u32 v4, v2, 24
	v_mul_lo_u32 v2, v2, 24
	v_add_u32_e32 v1, v4, v1
	s_waitcnt vmcnt(0)
	v_add_co_u32_e32 v4, vcc, v18, v2
	v_addc_co_u32_e32 v5, vcc, v19, v1, vcc
	v_mov_b32_e32 v16, v10
	global_store_dwordx2 v[4:5], v[10:11], off
	v_mov_b32_e32 v17, v11
	buffer_wbl2
	s_waitcnt vmcnt(0)
	global_atomic_cmpswap_x2 v[16:17], v43, v[14:17], s[2:3] offset:24 glc
	s_waitcnt vmcnt(0)
	v_cmp_ne_u64_e32 vcc, v[16:17], v[10:11]
	s_and_b64 exec, exec, vcc
	s_cbranch_execz .LBB4_31
; %bb.111:                              ;   in Loop: Header=BB4_32 Depth=2
	s_mov_b64 s[0:1], 0
.LBB4_112:                              ;   Parent Loop BB4_3 Depth=1
                                        ;     Parent Loop BB4_32 Depth=2
                                        ; =>    This Inner Loop Header: Depth=3
	s_sleep 1
	global_store_dwordx2 v[4:5], v[16:17], off
	buffer_wbl2
	s_waitcnt vmcnt(0)
	global_atomic_cmpswap_x2 v[10:11], v43, v[14:17], s[2:3] offset:24 glc
	s_waitcnt vmcnt(0)
	v_cmp_eq_u64_e32 vcc, v[10:11], v[16:17]
	s_or_b64 s[0:1], vcc, s[0:1]
	v_pk_mov_b32 v[16:17], v[10:11], v[10:11] op_sel:[0,1]
	s_andn2_b64 exec, exec, s[0:1]
	s_cbranch_execnz .LBB4_112
	s_branch .LBB4_31
.LBB4_113:                              ;   in Loop: Header=BB4_3 Depth=1
.LBB4_114:                              ;   in Loop: Header=BB4_3 Depth=1
	s_and_b64 vcc, exec, s[12:13]
	s_cbranch_vccz .LBB4_227
.LBB4_115:                              ;   in Loop: Header=BB4_3 Depth=1
	s_waitcnt vmcnt(0)
	v_and_b32_e32 v30, 2, v12
	v_and_b32_e32 v8, -3, v12
	v_mov_b32_e32 v9, v13
	s_mov_b64 s[16:17], 45
	s_getpc_b64 s[14:15]
	s_add_u32 s14, s14, .str.6@rel32@lo+4
	s_addc_u32 s15, s15, .str.6@rel32@hi+12
	s_branch .LBB4_117
.LBB4_116:                              ;   in Loop: Header=BB4_117 Depth=2
	s_or_b64 exec, exec, s[22:23]
	s_sub_u32 s16, s16, s18
	s_subb_u32 s17, s17, s19
	s_add_u32 s14, s14, s18
	s_addc_u32 s15, s15, s19
	s_cmp_lg_u64 s[16:17], 0
	s_cbranch_scc0 .LBB4_198
.LBB4_117:                              ;   Parent Loop BB4_3 Depth=1
                                        ; =>  This Loop Header: Depth=2
                                        ;       Child Loop BB4_120 Depth 3
                                        ;       Child Loop BB4_127 Depth 3
	;; [unrolled: 1-line block ×11, first 2 shown]
	v_cmp_lt_u64_e64 s[0:1], s[16:17], 56
	s_and_b64 s[0:1], s[0:1], exec
	v_cmp_gt_u64_e64 s[0:1], s[16:17], 7
	s_cselect_b32 s19, s17, 0
	s_cselect_b32 s18, s16, 56
	s_and_b64 vcc, exec, s[0:1]
	s_cbranch_vccnz .LBB4_122
; %bb.118:                              ;   in Loop: Header=BB4_117 Depth=2
	s_mov_b64 s[0:1], 0
	s_cmp_eq_u64 s[16:17], 0
	s_waitcnt vmcnt(0)
	v_pk_mov_b32 v[10:11], 0, 0
	s_cbranch_scc1 .LBB4_121
; %bb.119:                              ;   in Loop: Header=BB4_117 Depth=2
	s_lshl_b64 s[20:21], s[18:19], 3
	s_mov_b64 s[22:23], 0
	v_pk_mov_b32 v[10:11], 0, 0
	s_mov_b64 s[24:25], s[14:15]
.LBB4_120:                              ;   Parent Loop BB4_3 Depth=1
                                        ;     Parent Loop BB4_117 Depth=2
                                        ; =>    This Inner Loop Header: Depth=3
	global_load_ubyte v1, v43, s[24:25]
	s_waitcnt vmcnt(0)
	v_and_b32_e32 v42, 0xffff, v1
	v_lshlrev_b64 v[4:5], s22, v[42:43]
	s_add_u32 s22, s22, 8
	s_addc_u32 s23, s23, 0
	s_add_u32 s24, s24, 1
	s_addc_u32 s25, s25, 0
	v_or_b32_e32 v10, v4, v10
	s_cmp_lg_u32 s20, s22
	v_or_b32_e32 v11, v5, v11
	s_cbranch_scc1 .LBB4_120
.LBB4_121:                              ;   in Loop: Header=BB4_117 Depth=2
	s_mov_b32 s24, 0
	s_andn2_b64 vcc, exec, s[0:1]
	s_mov_b64 s[0:1], s[14:15]
	s_cbranch_vccz .LBB4_123
	s_branch .LBB4_124
.LBB4_122:                              ;   in Loop: Header=BB4_117 Depth=2
                                        ; implicit-def: $vgpr10_vgpr11
                                        ; implicit-def: $sgpr24
	s_mov_b64 s[0:1], s[14:15]
.LBB4_123:                              ;   in Loop: Header=BB4_117 Depth=2
	global_load_dwordx2 v[10:11], v43, s[14:15]
	s_add_i32 s24, s18, -8
	s_add_u32 s0, s14, 8
	s_addc_u32 s1, s15, 0
.LBB4_124:                              ;   in Loop: Header=BB4_117 Depth=2
	s_cmp_gt_u32 s24, 7
	s_cbranch_scc1 .LBB4_128
; %bb.125:                              ;   in Loop: Header=BB4_117 Depth=2
	s_cmp_eq_u32 s24, 0
	s_cbranch_scc1 .LBB4_129
; %bb.126:                              ;   in Loop: Header=BB4_117 Depth=2
	s_mov_b64 s[20:21], 0
	v_pk_mov_b32 v[14:15], 0, 0
	s_mov_b64 s[22:23], 0
.LBB4_127:                              ;   Parent Loop BB4_3 Depth=1
                                        ;     Parent Loop BB4_117 Depth=2
                                        ; =>    This Inner Loop Header: Depth=3
	s_add_u32 s26, s0, s22
	s_addc_u32 s27, s1, s23
	global_load_ubyte v1, v43, s[26:27]
	s_add_u32 s22, s22, 1
	s_addc_u32 s23, s23, 0
	s_waitcnt vmcnt(0)
	v_and_b32_e32 v42, 0xffff, v1
	v_lshlrev_b64 v[4:5], s20, v[42:43]
	s_add_u32 s20, s20, 8
	s_addc_u32 s21, s21, 0
	v_or_b32_e32 v14, v4, v14
	s_cmp_lg_u32 s24, s22
	v_or_b32_e32 v15, v5, v15
	s_cbranch_scc1 .LBB4_127
	s_branch .LBB4_130
.LBB4_128:                              ;   in Loop: Header=BB4_117 Depth=2
                                        ; implicit-def: $vgpr14_vgpr15
                                        ; implicit-def: $sgpr25
	s_branch .LBB4_131
.LBB4_129:                              ;   in Loop: Header=BB4_117 Depth=2
	v_pk_mov_b32 v[14:15], 0, 0
.LBB4_130:                              ;   in Loop: Header=BB4_117 Depth=2
	s_mov_b32 s25, 0
	s_cbranch_execnz .LBB4_132
.LBB4_131:                              ;   in Loop: Header=BB4_117 Depth=2
	global_load_dwordx2 v[14:15], v43, s[0:1]
	s_add_i32 s25, s24, -8
	s_add_u32 s0, s0, 8
	s_addc_u32 s1, s1, 0
.LBB4_132:                              ;   in Loop: Header=BB4_117 Depth=2
	s_cmp_gt_u32 s25, 7
	s_cbranch_scc1 .LBB4_136
; %bb.133:                              ;   in Loop: Header=BB4_117 Depth=2
	s_cmp_eq_u32 s25, 0
	s_cbranch_scc1 .LBB4_137
; %bb.134:                              ;   in Loop: Header=BB4_117 Depth=2
	s_mov_b64 s[20:21], 0
	v_pk_mov_b32 v[16:17], 0, 0
	s_mov_b64 s[22:23], 0
.LBB4_135:                              ;   Parent Loop BB4_3 Depth=1
                                        ;     Parent Loop BB4_117 Depth=2
                                        ; =>    This Inner Loop Header: Depth=3
	s_add_u32 s26, s0, s22
	s_addc_u32 s27, s1, s23
	global_load_ubyte v1, v43, s[26:27]
	s_add_u32 s22, s22, 1
	s_addc_u32 s23, s23, 0
	s_waitcnt vmcnt(0)
	v_and_b32_e32 v42, 0xffff, v1
	v_lshlrev_b64 v[4:5], s20, v[42:43]
	s_add_u32 s20, s20, 8
	s_addc_u32 s21, s21, 0
	v_or_b32_e32 v16, v4, v16
	s_cmp_lg_u32 s25, s22
	v_or_b32_e32 v17, v5, v17
	s_cbranch_scc1 .LBB4_135
	s_branch .LBB4_138
.LBB4_136:                              ;   in Loop: Header=BB4_117 Depth=2
                                        ; implicit-def: $sgpr24
	s_branch .LBB4_139
.LBB4_137:                              ;   in Loop: Header=BB4_117 Depth=2
	v_pk_mov_b32 v[16:17], 0, 0
.LBB4_138:                              ;   in Loop: Header=BB4_117 Depth=2
	s_mov_b32 s24, 0
	s_cbranch_execnz .LBB4_140
.LBB4_139:                              ;   in Loop: Header=BB4_117 Depth=2
	global_load_dwordx2 v[16:17], v43, s[0:1]
	s_add_i32 s24, s25, -8
	s_add_u32 s0, s0, 8
	s_addc_u32 s1, s1, 0
.LBB4_140:                              ;   in Loop: Header=BB4_117 Depth=2
	s_cmp_gt_u32 s24, 7
	s_cbranch_scc1 .LBB4_144
; %bb.141:                              ;   in Loop: Header=BB4_117 Depth=2
	s_cmp_eq_u32 s24, 0
	s_cbranch_scc1 .LBB4_145
; %bb.142:                              ;   in Loop: Header=BB4_117 Depth=2
	s_mov_b64 s[20:21], 0
	v_pk_mov_b32 v[18:19], 0, 0
	s_mov_b64 s[22:23], 0
.LBB4_143:                              ;   Parent Loop BB4_3 Depth=1
                                        ;     Parent Loop BB4_117 Depth=2
                                        ; =>    This Inner Loop Header: Depth=3
	s_add_u32 s26, s0, s22
	s_addc_u32 s27, s1, s23
	global_load_ubyte v1, v43, s[26:27]
	s_add_u32 s22, s22, 1
	s_addc_u32 s23, s23, 0
	s_waitcnt vmcnt(0)
	v_and_b32_e32 v42, 0xffff, v1
	v_lshlrev_b64 v[4:5], s20, v[42:43]
	s_add_u32 s20, s20, 8
	s_addc_u32 s21, s21, 0
	v_or_b32_e32 v18, v4, v18
	s_cmp_lg_u32 s24, s22
	v_or_b32_e32 v19, v5, v19
	s_cbranch_scc1 .LBB4_143
	s_branch .LBB4_146
.LBB4_144:                              ;   in Loop: Header=BB4_117 Depth=2
                                        ; implicit-def: $vgpr18_vgpr19
                                        ; implicit-def: $sgpr25
	s_branch .LBB4_147
.LBB4_145:                              ;   in Loop: Header=BB4_117 Depth=2
	v_pk_mov_b32 v[18:19], 0, 0
.LBB4_146:                              ;   in Loop: Header=BB4_117 Depth=2
	s_mov_b32 s25, 0
	s_cbranch_execnz .LBB4_148
.LBB4_147:                              ;   in Loop: Header=BB4_117 Depth=2
	global_load_dwordx2 v[18:19], v43, s[0:1]
	s_add_i32 s25, s24, -8
	s_add_u32 s0, s0, 8
	s_addc_u32 s1, s1, 0
.LBB4_148:                              ;   in Loop: Header=BB4_117 Depth=2
	s_cmp_gt_u32 s25, 7
	s_cbranch_scc1 .LBB4_152
; %bb.149:                              ;   in Loop: Header=BB4_117 Depth=2
	s_cmp_eq_u32 s25, 0
	s_cbranch_scc1 .LBB4_153
; %bb.150:                              ;   in Loop: Header=BB4_117 Depth=2
	s_mov_b64 s[20:21], 0
	v_pk_mov_b32 v[20:21], 0, 0
	s_mov_b64 s[22:23], 0
.LBB4_151:                              ;   Parent Loop BB4_3 Depth=1
                                        ;     Parent Loop BB4_117 Depth=2
                                        ; =>    This Inner Loop Header: Depth=3
	s_add_u32 s26, s0, s22
	s_addc_u32 s27, s1, s23
	global_load_ubyte v1, v43, s[26:27]
	s_add_u32 s22, s22, 1
	s_addc_u32 s23, s23, 0
	s_waitcnt vmcnt(0)
	v_and_b32_e32 v42, 0xffff, v1
	v_lshlrev_b64 v[4:5], s20, v[42:43]
	s_add_u32 s20, s20, 8
	s_addc_u32 s21, s21, 0
	v_or_b32_e32 v20, v4, v20
	s_cmp_lg_u32 s25, s22
	v_or_b32_e32 v21, v5, v21
	s_cbranch_scc1 .LBB4_151
	s_branch .LBB4_154
.LBB4_152:                              ;   in Loop: Header=BB4_117 Depth=2
                                        ; implicit-def: $sgpr24
	s_branch .LBB4_155
.LBB4_153:                              ;   in Loop: Header=BB4_117 Depth=2
	v_pk_mov_b32 v[20:21], 0, 0
.LBB4_154:                              ;   in Loop: Header=BB4_117 Depth=2
	s_mov_b32 s24, 0
	s_cbranch_execnz .LBB4_156
.LBB4_155:                              ;   in Loop: Header=BB4_117 Depth=2
	global_load_dwordx2 v[20:21], v43, s[0:1]
	s_add_i32 s24, s25, -8
	s_add_u32 s0, s0, 8
	s_addc_u32 s1, s1, 0
.LBB4_156:                              ;   in Loop: Header=BB4_117 Depth=2
	s_cmp_gt_u32 s24, 7
	s_cbranch_scc1 .LBB4_160
; %bb.157:                              ;   in Loop: Header=BB4_117 Depth=2
	s_cmp_eq_u32 s24, 0
	s_cbranch_scc1 .LBB4_161
; %bb.158:                              ;   in Loop: Header=BB4_117 Depth=2
	s_mov_b64 s[20:21], 0
	v_pk_mov_b32 v[22:23], 0, 0
	s_mov_b64 s[22:23], 0
.LBB4_159:                              ;   Parent Loop BB4_3 Depth=1
                                        ;     Parent Loop BB4_117 Depth=2
                                        ; =>    This Inner Loop Header: Depth=3
	s_add_u32 s26, s0, s22
	s_addc_u32 s27, s1, s23
	global_load_ubyte v1, v43, s[26:27]
	s_add_u32 s22, s22, 1
	s_addc_u32 s23, s23, 0
	s_waitcnt vmcnt(0)
	v_and_b32_e32 v42, 0xffff, v1
	v_lshlrev_b64 v[4:5], s20, v[42:43]
	s_add_u32 s20, s20, 8
	s_addc_u32 s21, s21, 0
	v_or_b32_e32 v22, v4, v22
	s_cmp_lg_u32 s24, s22
	v_or_b32_e32 v23, v5, v23
	s_cbranch_scc1 .LBB4_159
	s_branch .LBB4_162
.LBB4_160:                              ;   in Loop: Header=BB4_117 Depth=2
                                        ; implicit-def: $vgpr22_vgpr23
                                        ; implicit-def: $sgpr25
	s_branch .LBB4_163
.LBB4_161:                              ;   in Loop: Header=BB4_117 Depth=2
	v_pk_mov_b32 v[22:23], 0, 0
.LBB4_162:                              ;   in Loop: Header=BB4_117 Depth=2
	s_mov_b32 s25, 0
	s_cbranch_execnz .LBB4_164
.LBB4_163:                              ;   in Loop: Header=BB4_117 Depth=2
	global_load_dwordx2 v[22:23], v43, s[0:1]
	s_add_i32 s25, s24, -8
	s_add_u32 s0, s0, 8
	s_addc_u32 s1, s1, 0
.LBB4_164:                              ;   in Loop: Header=BB4_117 Depth=2
	s_cmp_gt_u32 s25, 7
	s_cbranch_scc1 .LBB4_168
; %bb.165:                              ;   in Loop: Header=BB4_117 Depth=2
	s_cmp_eq_u32 s25, 0
	s_cbranch_scc1 .LBB4_169
; %bb.166:                              ;   in Loop: Header=BB4_117 Depth=2
	s_mov_b64 s[20:21], 0
	v_pk_mov_b32 v[24:25], 0, 0
	s_mov_b64 s[22:23], s[0:1]
.LBB4_167:                              ;   Parent Loop BB4_3 Depth=1
                                        ;     Parent Loop BB4_117 Depth=2
                                        ; =>    This Inner Loop Header: Depth=3
	global_load_ubyte v1, v43, s[22:23]
	s_add_i32 s25, s25, -1
	s_waitcnt vmcnt(0)
	v_and_b32_e32 v42, 0xffff, v1
	v_lshlrev_b64 v[4:5], s20, v[42:43]
	s_add_u32 s20, s20, 8
	s_addc_u32 s21, s21, 0
	s_add_u32 s22, s22, 1
	s_addc_u32 s23, s23, 0
	v_or_b32_e32 v24, v4, v24
	s_cmp_lg_u32 s25, 0
	v_or_b32_e32 v25, v5, v25
	s_cbranch_scc1 .LBB4_167
	s_branch .LBB4_170
.LBB4_168:                              ;   in Loop: Header=BB4_117 Depth=2
	s_branch .LBB4_171
.LBB4_169:                              ;   in Loop: Header=BB4_117 Depth=2
	v_pk_mov_b32 v[24:25], 0, 0
.LBB4_170:                              ;   in Loop: Header=BB4_117 Depth=2
	s_cbranch_execnz .LBB4_172
.LBB4_171:                              ;   in Loop: Header=BB4_117 Depth=2
	global_load_dwordx2 v[24:25], v43, s[0:1]
.LBB4_172:                              ;   in Loop: Header=BB4_117 Depth=2
	v_readfirstlane_b32 s0, v40
	v_cmp_eq_u32_e64 s[0:1], s0, v40
	v_pk_mov_b32 v[4:5], 0, 0
	s_and_saveexec_b64 s[20:21], s[0:1]
	s_cbranch_execz .LBB4_178
; %bb.173:                              ;   in Loop: Header=BB4_117 Depth=2
	global_load_dwordx2 v[28:29], v43, s[2:3] offset:24 glc
	s_waitcnt vmcnt(0)
	buffer_invl2
	buffer_wbinvl1_vol
	global_load_dwordx2 v[4:5], v43, s[2:3] offset:40
	global_load_dwordx2 v[26:27], v43, s[2:3]
	s_waitcnt vmcnt(1)
	v_and_b32_e32 v1, v4, v28
	v_and_b32_e32 v2, v5, v29
	v_mul_lo_u32 v2, v2, 24
	v_mul_hi_u32 v4, v1, 24
	v_mul_lo_u32 v1, v1, 24
	v_add_u32_e32 v2, v4, v2
	s_waitcnt vmcnt(0)
	v_add_co_u32_e32 v4, vcc, v26, v1
	v_addc_co_u32_e32 v5, vcc, v27, v2, vcc
	global_load_dwordx2 v[26:27], v[4:5], off glc
	s_waitcnt vmcnt(0)
	global_atomic_cmpswap_x2 v[4:5], v43, v[26:29], s[2:3] offset:24 glc
	s_waitcnt vmcnt(0)
	buffer_invl2
	buffer_wbinvl1_vol
	v_cmp_ne_u64_e32 vcc, v[4:5], v[28:29]
	s_and_saveexec_b64 s[22:23], vcc
	s_cbranch_execz .LBB4_177
; %bb.174:                              ;   in Loop: Header=BB4_117 Depth=2
	s_mov_b64 s[24:25], 0
.LBB4_175:                              ;   Parent Loop BB4_3 Depth=1
                                        ;     Parent Loop BB4_117 Depth=2
                                        ; =>    This Inner Loop Header: Depth=3
	s_sleep 1
	global_load_dwordx2 v[26:27], v43, s[2:3] offset:40
	global_load_dwordx2 v[32:33], v43, s[2:3]
	v_pk_mov_b32 v[28:29], v[4:5], v[4:5] op_sel:[0,1]
	s_waitcnt vmcnt(1)
	v_and_b32_e32 v2, v26, v28
	s_waitcnt vmcnt(0)
	v_mad_u64_u32 v[4:5], s[26:27], v2, 24, v[32:33]
	v_and_b32_e32 v1, v27, v29
	v_mov_b32_e32 v2, v5
	v_mad_u64_u32 v[26:27], s[26:27], v1, 24, v[2:3]
	v_mov_b32_e32 v5, v26
	global_load_dwordx2 v[26:27], v[4:5], off glc
	s_waitcnt vmcnt(0)
	global_atomic_cmpswap_x2 v[4:5], v43, v[26:29], s[2:3] offset:24 glc
	s_waitcnt vmcnt(0)
	buffer_invl2
	buffer_wbinvl1_vol
	v_cmp_eq_u64_e32 vcc, v[4:5], v[28:29]
	s_or_b64 s[24:25], vcc, s[24:25]
	s_andn2_b64 exec, exec, s[24:25]
	s_cbranch_execnz .LBB4_175
; %bb.176:                              ;   in Loop: Header=BB4_117 Depth=2
	s_or_b64 exec, exec, s[24:25]
.LBB4_177:                              ;   in Loop: Header=BB4_117 Depth=2
	s_or_b64 exec, exec, s[22:23]
.LBB4_178:                              ;   in Loop: Header=BB4_117 Depth=2
	s_or_b64 exec, exec, s[20:21]
	global_load_dwordx2 v[32:33], v43, s[2:3] offset:40
	global_load_dwordx4 v[26:29], v43, s[2:3]
	v_readfirstlane_b32 s20, v4
	v_readfirstlane_b32 s21, v5
	s_mov_b64 s[22:23], exec
	s_waitcnt vmcnt(1)
	v_readfirstlane_b32 s24, v32
	v_readfirstlane_b32 s25, v33
	s_and_b64 s[24:25], s[20:21], s[24:25]
	s_mul_i32 s26, s25, 24
	s_mul_hi_u32 s27, s24, 24
	s_mul_i32 s33, s24, 24
	s_add_i32 s26, s27, s26
	v_mov_b32_e32 v1, s26
	s_waitcnt vmcnt(0)
	v_add_co_u32_e32 v32, vcc, s33, v26
	v_addc_co_u32_e32 v33, vcc, v27, v1, vcc
	s_and_saveexec_b64 s[26:27], s[0:1]
	s_cbranch_execz .LBB4_180
; %bb.179:                              ;   in Loop: Header=BB4_117 Depth=2
	v_pk_mov_b32 v[4:5], s[22:23], s[22:23] op_sel:[0,1]
	global_store_dwordx4 v[32:33], v[4:7], off offset:8
.LBB4_180:                              ;   in Loop: Header=BB4_117 Depth=2
	s_or_b64 exec, exec, s[26:27]
	s_lshl_b64 s[22:23], s[24:25], 12
	v_mov_b32_e32 v1, s23
	v_add_co_u32_e32 v4, vcc, s22, v28
	v_addc_co_u32_e32 v1, vcc, v29, v1, vcc
	v_or_b32_e32 v2, 0, v9
	v_or_b32_e32 v5, v8, v30
	v_cmp_gt_u64_e64 vcc, s[16:17], 56
	s_lshl_b32 s22, s18, 2
	v_cndmask_b32_e32 v9, v2, v9, vcc
	v_cndmask_b32_e32 v2, v5, v8, vcc
	s_add_i32 s22, s22, 28
	s_and_b32 s22, s22, 0x1e0
	v_and_b32_e32 v2, 0xffffff1f, v2
	v_or_b32_e32 v8, s22, v2
	v_readfirstlane_b32 s22, v4
	v_readfirstlane_b32 s23, v1
	s_nop 4
	global_store_dwordx4 v45, v[8:11], s[22:23]
	global_store_dwordx4 v45, v[14:17], s[22:23] offset:16
	global_store_dwordx4 v45, v[18:21], s[22:23] offset:32
	;; [unrolled: 1-line block ×3, first 2 shown]
	s_and_saveexec_b64 s[22:23], s[0:1]
	s_cbranch_execz .LBB4_188
; %bb.181:                              ;   in Loop: Header=BB4_117 Depth=2
	global_load_dwordx2 v[18:19], v43, s[2:3] offset:32 glc
	global_load_dwordx2 v[8:9], v43, s[2:3] offset:40
	v_mov_b32_e32 v16, s20
	v_mov_b32_e32 v17, s21
	s_waitcnt vmcnt(0)
	v_readfirstlane_b32 s24, v8
	v_readfirstlane_b32 s25, v9
	s_and_b64 s[24:25], s[24:25], s[20:21]
	s_mul_i32 s25, s25, 24
	s_mul_hi_u32 s26, s24, 24
	s_mul_i32 s24, s24, 24
	s_add_i32 s25, s26, s25
	v_mov_b32_e32 v2, s25
	v_add_co_u32_e32 v14, vcc, s24, v26
	v_addc_co_u32_e32 v15, vcc, v27, v2, vcc
	global_store_dwordx2 v[14:15], v[18:19], off
	buffer_wbl2
	s_waitcnt vmcnt(0)
	global_atomic_cmpswap_x2 v[10:11], v43, v[16:19], s[2:3] offset:32 glc
	s_waitcnt vmcnt(0)
	v_cmp_ne_u64_e32 vcc, v[10:11], v[18:19]
	s_and_saveexec_b64 s[24:25], vcc
	s_cbranch_execz .LBB4_184
; %bb.182:                              ;   in Loop: Header=BB4_117 Depth=2
	s_mov_b64 s[26:27], 0
.LBB4_183:                              ;   Parent Loop BB4_3 Depth=1
                                        ;     Parent Loop BB4_117 Depth=2
                                        ; =>    This Inner Loop Header: Depth=3
	s_sleep 1
	global_store_dwordx2 v[14:15], v[10:11], off
	v_mov_b32_e32 v8, s20
	v_mov_b32_e32 v9, s21
	buffer_wbl2
	s_waitcnt vmcnt(0)
	global_atomic_cmpswap_x2 v[8:9], v43, v[8:11], s[2:3] offset:32 glc
	s_waitcnt vmcnt(0)
	v_cmp_eq_u64_e32 vcc, v[8:9], v[10:11]
	s_or_b64 s[26:27], vcc, s[26:27]
	v_pk_mov_b32 v[10:11], v[8:9], v[8:9] op_sel:[0,1]
	s_andn2_b64 exec, exec, s[26:27]
	s_cbranch_execnz .LBB4_183
.LBB4_184:                              ;   in Loop: Header=BB4_117 Depth=2
	s_or_b64 exec, exec, s[24:25]
	global_load_dwordx2 v[8:9], v43, s[2:3] offset:16
	s_mov_b64 s[26:27], exec
	v_mbcnt_lo_u32_b32 v2, s26, 0
	v_mbcnt_hi_u32_b32 v2, s27, v2
	v_cmp_eq_u32_e32 vcc, 0, v2
	s_and_saveexec_b64 s[24:25], vcc
	s_cbranch_execz .LBB4_186
; %bb.185:                              ;   in Loop: Header=BB4_117 Depth=2
	s_bcnt1_i32_b64 s26, s[26:27]
	v_mov_b32_e32 v2, s26
	buffer_wbl2
	s_waitcnt vmcnt(0)
	global_atomic_add_x2 v[8:9], v[2:3], off offset:8
.LBB4_186:                              ;   in Loop: Header=BB4_117 Depth=2
	s_or_b64 exec, exec, s[24:25]
	s_waitcnt vmcnt(0)
	global_load_dwordx2 v[10:11], v[8:9], off offset:16
	s_waitcnt vmcnt(0)
	v_cmp_eq_u64_e32 vcc, 0, v[10:11]
	s_cbranch_vccnz .LBB4_188
; %bb.187:                              ;   in Loop: Header=BB4_117 Depth=2
	global_load_dword v42, v[8:9], off offset:24
	s_waitcnt vmcnt(0)
	v_and_b32_e32 v2, 0xffffff, v42
	v_readfirstlane_b32 m0, v2
	buffer_wbl2
	global_store_dwordx2 v[10:11], v[42:43], off
	s_sendmsg sendmsg(MSG_INTERRUPT)
.LBB4_188:                              ;   in Loop: Header=BB4_117 Depth=2
	s_or_b64 exec, exec, s[22:23]
	v_add_co_u32_e32 v4, vcc, v4, v45
	v_addc_co_u32_e32 v5, vcc, 0, v1, vcc
	s_branch .LBB4_192
.LBB4_189:                              ;   in Loop: Header=BB4_192 Depth=3
	s_or_b64 exec, exec, s[22:23]
	v_readfirstlane_b32 s22, v1
	s_cmp_eq_u32 s22, 0
	s_cbranch_scc1 .LBB4_191
; %bb.190:                              ;   in Loop: Header=BB4_192 Depth=3
	s_sleep 1
	s_cbranch_execnz .LBB4_192
	s_branch .LBB4_194
.LBB4_191:                              ;   in Loop: Header=BB4_117 Depth=2
	s_branch .LBB4_194
.LBB4_192:                              ;   Parent Loop BB4_3 Depth=1
                                        ;     Parent Loop BB4_117 Depth=2
                                        ; =>    This Inner Loop Header: Depth=3
	v_mov_b32_e32 v1, 1
	s_and_saveexec_b64 s[22:23], s[0:1]
	s_cbranch_execz .LBB4_189
; %bb.193:                              ;   in Loop: Header=BB4_192 Depth=3
	global_load_dword v1, v[32:33], off offset:20 glc
	s_waitcnt vmcnt(0)
	buffer_invl2
	buffer_wbinvl1_vol
	v_and_b32_e32 v1, 1, v1
	s_branch .LBB4_189
.LBB4_194:                              ;   in Loop: Header=BB4_117 Depth=2
	global_load_dwordx4 v[8:11], v[4:5], off
	s_and_saveexec_b64 s[22:23], s[0:1]
	s_cbranch_execz .LBB4_116
; %bb.195:                              ;   in Loop: Header=BB4_117 Depth=2
	global_load_dwordx2 v[4:5], v43, s[2:3] offset:40
	global_load_dwordx2 v[10:11], v43, s[2:3] offset:24 glc
	global_load_dwordx2 v[18:19], v43, s[2:3]
	v_mov_b32_e32 v1, s21
	s_waitcnt vmcnt(2)
	v_add_co_u32_e32 v2, vcc, 1, v4
	v_addc_co_u32_e32 v17, vcc, 0, v5, vcc
	v_add_co_u32_e32 v14, vcc, s20, v2
	v_addc_co_u32_e32 v15, vcc, v17, v1, vcc
	v_cmp_eq_u64_e32 vcc, 0, v[14:15]
	v_cndmask_b32_e32 v15, v15, v17, vcc
	v_cndmask_b32_e32 v14, v14, v2, vcc
	v_and_b32_e32 v1, v15, v5
	v_and_b32_e32 v2, v14, v4
	v_mul_lo_u32 v1, v1, 24
	v_mul_hi_u32 v4, v2, 24
	v_mul_lo_u32 v2, v2, 24
	v_add_u32_e32 v1, v4, v1
	s_waitcnt vmcnt(0)
	v_add_co_u32_e32 v4, vcc, v18, v2
	v_addc_co_u32_e32 v5, vcc, v19, v1, vcc
	v_mov_b32_e32 v16, v10
	global_store_dwordx2 v[4:5], v[10:11], off
	v_mov_b32_e32 v17, v11
	buffer_wbl2
	s_waitcnt vmcnt(0)
	global_atomic_cmpswap_x2 v[16:17], v43, v[14:17], s[2:3] offset:24 glc
	s_waitcnt vmcnt(0)
	v_cmp_ne_u64_e32 vcc, v[16:17], v[10:11]
	s_and_b64 exec, exec, vcc
	s_cbranch_execz .LBB4_116
; %bb.196:                              ;   in Loop: Header=BB4_117 Depth=2
	s_mov_b64 s[0:1], 0
.LBB4_197:                              ;   Parent Loop BB4_3 Depth=1
                                        ;     Parent Loop BB4_117 Depth=2
                                        ; =>    This Inner Loop Header: Depth=3
	s_sleep 1
	global_store_dwordx2 v[4:5], v[16:17], off
	buffer_wbl2
	s_waitcnt vmcnt(0)
	global_atomic_cmpswap_x2 v[10:11], v43, v[14:17], s[2:3] offset:24 glc
	s_waitcnt vmcnt(0)
	v_cmp_eq_u64_e32 vcc, v[10:11], v[16:17]
	s_or_b64 s[0:1], vcc, s[0:1]
	v_pk_mov_b32 v[16:17], v[10:11], v[10:11] op_sel:[0,1]
	s_andn2_b64 exec, exec, s[0:1]
	s_cbranch_execnz .LBB4_197
	s_branch .LBB4_116
.LBB4_198:                              ;   in Loop: Header=BB4_3 Depth=1
	s_branch .LBB4_255
.LBB4_199:                              ;   in Loop: Header=BB4_3 Depth=1
                                        ; implicit-def: $vgpr12_vgpr13
	s_cbranch_execz .LBB4_114
; %bb.200:                              ;   in Loop: Header=BB4_3 Depth=1
	v_readfirstlane_b32 s0, v40
	v_cmp_eq_u32_e64 s[0:1], s0, v40
	v_pk_mov_b32 v[4:5], 0, 0
	s_and_saveexec_b64 s[14:15], s[0:1]
	s_cbranch_execz .LBB4_206
; %bb.201:                              ;   in Loop: Header=BB4_3 Depth=1
	global_load_dwordx2 v[12:13], v43, s[2:3] offset:24 glc
	s_waitcnt vmcnt(0)
	buffer_invl2
	buffer_wbinvl1_vol
	global_load_dwordx2 v[4:5], v43, s[2:3] offset:40
	global_load_dwordx2 v[10:11], v43, s[2:3]
	s_waitcnt vmcnt(1)
	v_and_b32_e32 v1, v4, v12
	v_and_b32_e32 v2, v5, v13
	v_mul_lo_u32 v2, v2, 24
	v_mul_hi_u32 v4, v1, 24
	v_mul_lo_u32 v1, v1, 24
	v_add_u32_e32 v2, v4, v2
	s_waitcnt vmcnt(0)
	v_add_co_u32_e32 v4, vcc, v10, v1
	v_addc_co_u32_e32 v5, vcc, v11, v2, vcc
	global_load_dwordx2 v[10:11], v[4:5], off glc
	s_waitcnt vmcnt(0)
	global_atomic_cmpswap_x2 v[4:5], v43, v[10:13], s[2:3] offset:24 glc
	s_waitcnt vmcnt(0)
	buffer_invl2
	buffer_wbinvl1_vol
	v_cmp_ne_u64_e32 vcc, v[4:5], v[12:13]
	s_and_saveexec_b64 s[16:17], vcc
	s_cbranch_execz .LBB4_205
; %bb.202:                              ;   in Loop: Header=BB4_3 Depth=1
	s_mov_b64 s[18:19], 0
.LBB4_203:                              ;   Parent Loop BB4_3 Depth=1
                                        ; =>  This Inner Loop Header: Depth=2
	s_sleep 1
	global_load_dwordx2 v[10:11], v43, s[2:3] offset:40
	global_load_dwordx2 v[14:15], v43, s[2:3]
	v_pk_mov_b32 v[12:13], v[4:5], v[4:5] op_sel:[0,1]
	s_waitcnt vmcnt(1)
	v_and_b32_e32 v2, v10, v12
	s_waitcnt vmcnt(0)
	v_mad_u64_u32 v[4:5], s[20:21], v2, 24, v[14:15]
	v_and_b32_e32 v1, v11, v13
	v_mov_b32_e32 v2, v5
	v_mad_u64_u32 v[10:11], s[20:21], v1, 24, v[2:3]
	v_mov_b32_e32 v5, v10
	global_load_dwordx2 v[10:11], v[4:5], off glc
	s_waitcnt vmcnt(0)
	global_atomic_cmpswap_x2 v[4:5], v43, v[10:13], s[2:3] offset:24 glc
	s_waitcnt vmcnt(0)
	buffer_invl2
	buffer_wbinvl1_vol
	v_cmp_eq_u64_e32 vcc, v[4:5], v[12:13]
	s_or_b64 s[18:19], vcc, s[18:19]
	s_andn2_b64 exec, exec, s[18:19]
	s_cbranch_execnz .LBB4_203
; %bb.204:                              ;   in Loop: Header=BB4_3 Depth=1
	s_or_b64 exec, exec, s[18:19]
.LBB4_205:                              ;   in Loop: Header=BB4_3 Depth=1
	s_or_b64 exec, exec, s[16:17]
.LBB4_206:                              ;   in Loop: Header=BB4_3 Depth=1
	s_or_b64 exec, exec, s[14:15]
	global_load_dwordx2 v[10:11], v43, s[2:3] offset:40
	global_load_dwordx4 v[12:15], v43, s[2:3]
	v_readfirstlane_b32 s14, v4
	v_readfirstlane_b32 s15, v5
	s_mov_b64 s[16:17], exec
	s_waitcnt vmcnt(1)
	v_readfirstlane_b32 s18, v10
	v_readfirstlane_b32 s19, v11
	s_and_b64 s[18:19], s[14:15], s[18:19]
	s_mul_i32 s20, s19, 24
	s_mul_hi_u32 s21, s18, 24
	s_mul_i32 s22, s18, 24
	s_add_i32 s20, s21, s20
	v_mov_b32_e32 v1, s20
	s_waitcnt vmcnt(0)
	v_add_co_u32_e32 v16, vcc, s22, v12
	v_addc_co_u32_e32 v17, vcc, v13, v1, vcc
	s_and_saveexec_b64 s[20:21], s[0:1]
	s_cbranch_execz .LBB4_208
; %bb.207:                              ;   in Loop: Header=BB4_3 Depth=1
	v_pk_mov_b32 v[4:5], s[16:17], s[16:17] op_sel:[0,1]
	global_store_dwordx4 v[16:17], v[4:7], off offset:8
.LBB4_208:                              ;   in Loop: Header=BB4_3 Depth=1
	s_or_b64 exec, exec, s[20:21]
	s_lshl_b64 s[16:17], s[18:19], 12
	v_mov_b32_e32 v1, s17
	v_add_co_u32_e32 v4, vcc, s16, v14
	v_addc_co_u32_e32 v1, vcc, v15, v1, vcc
	v_and_or_b32 v8, v8, s29, 32
	v_mov_b32_e32 v10, v3
	v_mov_b32_e32 v11, v3
	v_readfirstlane_b32 s16, v4
	v_readfirstlane_b32 s17, v1
	s_nop 4
	global_store_dwordx4 v45, v[8:11], s[16:17]
	s_nop 0
	v_pk_mov_b32 v[8:9], s[8:9], s[8:9] op_sel:[0,1]
	v_pk_mov_b32 v[10:11], s[10:11], s[10:11] op_sel:[0,1]
	global_store_dwordx4 v45, v[8:11], s[16:17] offset:16
	global_store_dwordx4 v45, v[8:11], s[16:17] offset:32
	;; [unrolled: 1-line block ×3, first 2 shown]
	s_and_saveexec_b64 s[16:17], s[0:1]
	s_cbranch_execz .LBB4_216
; %bb.209:                              ;   in Loop: Header=BB4_3 Depth=1
	global_load_dwordx2 v[20:21], v43, s[2:3] offset:32 glc
	global_load_dwordx2 v[8:9], v43, s[2:3] offset:40
	v_mov_b32_e32 v18, s14
	v_mov_b32_e32 v19, s15
	s_waitcnt vmcnt(0)
	v_readfirstlane_b32 s18, v8
	v_readfirstlane_b32 s19, v9
	s_and_b64 s[18:19], s[18:19], s[14:15]
	s_mul_i32 s19, s19, 24
	s_mul_hi_u32 s20, s18, 24
	s_mul_i32 s18, s18, 24
	s_add_i32 s19, s20, s19
	v_mov_b32_e32 v2, s19
	v_add_co_u32_e32 v12, vcc, s18, v12
	v_addc_co_u32_e32 v13, vcc, v13, v2, vcc
	global_store_dwordx2 v[12:13], v[20:21], off
	buffer_wbl2
	s_waitcnt vmcnt(0)
	global_atomic_cmpswap_x2 v[10:11], v43, v[18:21], s[2:3] offset:32 glc
	s_waitcnt vmcnt(0)
	v_cmp_ne_u64_e32 vcc, v[10:11], v[20:21]
	s_and_saveexec_b64 s[18:19], vcc
	s_cbranch_execz .LBB4_212
; %bb.210:                              ;   in Loop: Header=BB4_3 Depth=1
	s_mov_b64 s[20:21], 0
.LBB4_211:                              ;   Parent Loop BB4_3 Depth=1
                                        ; =>  This Inner Loop Header: Depth=2
	s_sleep 1
	global_store_dwordx2 v[12:13], v[10:11], off
	v_mov_b32_e32 v8, s14
	v_mov_b32_e32 v9, s15
	buffer_wbl2
	s_waitcnt vmcnt(0)
	global_atomic_cmpswap_x2 v[8:9], v43, v[8:11], s[2:3] offset:32 glc
	s_waitcnt vmcnt(0)
	v_cmp_eq_u64_e32 vcc, v[8:9], v[10:11]
	s_or_b64 s[20:21], vcc, s[20:21]
	v_pk_mov_b32 v[10:11], v[8:9], v[8:9] op_sel:[0,1]
	s_andn2_b64 exec, exec, s[20:21]
	s_cbranch_execnz .LBB4_211
.LBB4_212:                              ;   in Loop: Header=BB4_3 Depth=1
	s_or_b64 exec, exec, s[18:19]
	global_load_dwordx2 v[8:9], v43, s[2:3] offset:16
	s_mov_b64 s[20:21], exec
	v_mbcnt_lo_u32_b32 v2, s20, 0
	v_mbcnt_hi_u32_b32 v2, s21, v2
	v_cmp_eq_u32_e32 vcc, 0, v2
	s_and_saveexec_b64 s[18:19], vcc
	s_cbranch_execz .LBB4_214
; %bb.213:                              ;   in Loop: Header=BB4_3 Depth=1
	s_bcnt1_i32_b64 s20, s[20:21]
	v_mov_b32_e32 v2, s20
	buffer_wbl2
	s_waitcnt vmcnt(0)
	global_atomic_add_x2 v[8:9], v[2:3], off offset:8
.LBB4_214:                              ;   in Loop: Header=BB4_3 Depth=1
	s_or_b64 exec, exec, s[18:19]
	s_waitcnt vmcnt(0)
	global_load_dwordx2 v[10:11], v[8:9], off offset:16
	s_waitcnt vmcnt(0)
	v_cmp_eq_u64_e32 vcc, 0, v[10:11]
	s_cbranch_vccnz .LBB4_216
; %bb.215:                              ;   in Loop: Header=BB4_3 Depth=1
	global_load_dword v42, v[8:9], off offset:24
	s_waitcnt vmcnt(0)
	v_and_b32_e32 v2, 0xffffff, v42
	v_readfirstlane_b32 m0, v2
	buffer_wbl2
	global_store_dwordx2 v[10:11], v[42:43], off
	s_sendmsg sendmsg(MSG_INTERRUPT)
.LBB4_216:                              ;   in Loop: Header=BB4_3 Depth=1
	s_or_b64 exec, exec, s[16:17]
	v_add_co_u32_e32 v4, vcc, v4, v45
	v_addc_co_u32_e32 v5, vcc, 0, v1, vcc
	s_branch .LBB4_220
.LBB4_217:                              ;   in Loop: Header=BB4_220 Depth=2
	s_or_b64 exec, exec, s[16:17]
	v_readfirstlane_b32 s16, v1
	s_cmp_eq_u32 s16, 0
	s_cbranch_scc1 .LBB4_219
; %bb.218:                              ;   in Loop: Header=BB4_220 Depth=2
	s_sleep 1
	s_cbranch_execnz .LBB4_220
	s_branch .LBB4_222
.LBB4_219:                              ;   in Loop: Header=BB4_3 Depth=1
	s_branch .LBB4_222
.LBB4_220:                              ;   Parent Loop BB4_3 Depth=1
                                        ; =>  This Inner Loop Header: Depth=2
	v_mov_b32_e32 v1, 1
	s_and_saveexec_b64 s[16:17], s[0:1]
	s_cbranch_execz .LBB4_217
; %bb.221:                              ;   in Loop: Header=BB4_220 Depth=2
	global_load_dword v1, v[16:17], off offset:20 glc
	s_waitcnt vmcnt(0)
	buffer_invl2
	buffer_wbinvl1_vol
	v_and_b32_e32 v1, 1, v1
	s_branch .LBB4_217
.LBB4_222:                              ;   in Loop: Header=BB4_3 Depth=1
	global_load_dwordx2 v[12:13], v[4:5], off
	s_and_saveexec_b64 s[16:17], s[0:1]
	s_cbranch_execz .LBB4_226
; %bb.223:                              ;   in Loop: Header=BB4_3 Depth=1
	global_load_dwordx2 v[4:5], v43, s[2:3] offset:40
	global_load_dwordx2 v[14:15], v43, s[2:3] offset:24 glc
	global_load_dwordx2 v[16:17], v43, s[2:3]
	v_mov_b32_e32 v1, s15
	s_waitcnt vmcnt(2)
	v_add_co_u32_e32 v2, vcc, 1, v4
	v_addc_co_u32_e32 v11, vcc, 0, v5, vcc
	v_add_co_u32_e32 v8, vcc, s14, v2
	v_addc_co_u32_e32 v9, vcc, v11, v1, vcc
	v_cmp_eq_u64_e32 vcc, 0, v[8:9]
	v_cndmask_b32_e32 v9, v9, v11, vcc
	v_cndmask_b32_e32 v8, v8, v2, vcc
	v_and_b32_e32 v1, v9, v5
	v_and_b32_e32 v2, v8, v4
	v_mul_lo_u32 v1, v1, 24
	v_mul_hi_u32 v4, v2, 24
	v_mul_lo_u32 v2, v2, 24
	v_add_u32_e32 v1, v4, v1
	s_waitcnt vmcnt(0)
	v_add_co_u32_e32 v4, vcc, v16, v2
	v_addc_co_u32_e32 v5, vcc, v17, v1, vcc
	v_mov_b32_e32 v10, v14
	global_store_dwordx2 v[4:5], v[14:15], off
	v_mov_b32_e32 v11, v15
	buffer_wbl2
	s_waitcnt vmcnt(0)
	global_atomic_cmpswap_x2 v[10:11], v43, v[8:11], s[2:3] offset:24 glc
	s_waitcnt vmcnt(0)
	v_cmp_ne_u64_e32 vcc, v[10:11], v[14:15]
	s_and_b64 exec, exec, vcc
	s_cbranch_execz .LBB4_226
; %bb.224:                              ;   in Loop: Header=BB4_3 Depth=1
	s_mov_b64 s[0:1], 0
.LBB4_225:                              ;   Parent Loop BB4_3 Depth=1
                                        ; =>  This Inner Loop Header: Depth=2
	s_sleep 1
	global_store_dwordx2 v[4:5], v[10:11], off
	buffer_wbl2
	s_waitcnt vmcnt(0)
	global_atomic_cmpswap_x2 v[14:15], v43, v[8:11], s[2:3] offset:24 glc
	s_waitcnt vmcnt(0)
	v_cmp_eq_u64_e32 vcc, v[14:15], v[10:11]
	s_or_b64 s[0:1], vcc, s[0:1]
	v_pk_mov_b32 v[10:11], v[14:15], v[14:15] op_sel:[0,1]
	s_andn2_b64 exec, exec, s[0:1]
	s_cbranch_execnz .LBB4_225
.LBB4_226:                              ;   in Loop: Header=BB4_3 Depth=1
	s_or_b64 exec, exec, s[16:17]
	s_and_b64 vcc, exec, s[12:13]
	s_cbranch_vccnz .LBB4_115
.LBB4_227:                              ;   in Loop: Header=BB4_3 Depth=1
                                        ; implicit-def: $vgpr8_vgpr9
	s_cbranch_execz .LBB4_255
; %bb.228:                              ;   in Loop: Header=BB4_3 Depth=1
	v_readfirstlane_b32 s0, v40
	v_cmp_eq_u32_e64 s[0:1], s0, v40
	v_pk_mov_b32 v[4:5], 0, 0
	s_and_saveexec_b64 s[14:15], s[0:1]
	s_cbranch_execz .LBB4_234
; %bb.229:                              ;   in Loop: Header=BB4_3 Depth=1
	global_load_dwordx2 v[10:11], v43, s[2:3] offset:24 glc
	s_waitcnt vmcnt(0)
	buffer_invl2
	buffer_wbinvl1_vol
	global_load_dwordx2 v[4:5], v43, s[2:3] offset:40
	global_load_dwordx2 v[8:9], v43, s[2:3]
	s_waitcnt vmcnt(1)
	v_and_b32_e32 v1, v4, v10
	v_and_b32_e32 v2, v5, v11
	v_mul_lo_u32 v2, v2, 24
	v_mul_hi_u32 v4, v1, 24
	v_mul_lo_u32 v1, v1, 24
	v_add_u32_e32 v2, v4, v2
	s_waitcnt vmcnt(0)
	v_add_co_u32_e32 v4, vcc, v8, v1
	v_addc_co_u32_e32 v5, vcc, v9, v2, vcc
	global_load_dwordx2 v[8:9], v[4:5], off glc
	s_waitcnt vmcnt(0)
	global_atomic_cmpswap_x2 v[4:5], v43, v[8:11], s[2:3] offset:24 glc
	s_waitcnt vmcnt(0)
	buffer_invl2
	buffer_wbinvl1_vol
	v_cmp_ne_u64_e32 vcc, v[4:5], v[10:11]
	s_and_saveexec_b64 s[16:17], vcc
	s_cbranch_execz .LBB4_233
; %bb.230:                              ;   in Loop: Header=BB4_3 Depth=1
	s_mov_b64 s[18:19], 0
.LBB4_231:                              ;   Parent Loop BB4_3 Depth=1
                                        ; =>  This Inner Loop Header: Depth=2
	s_sleep 1
	global_load_dwordx2 v[8:9], v43, s[2:3] offset:40
	global_load_dwordx2 v[14:15], v43, s[2:3]
	v_pk_mov_b32 v[10:11], v[4:5], v[4:5] op_sel:[0,1]
	s_waitcnt vmcnt(1)
	v_and_b32_e32 v2, v8, v10
	s_waitcnt vmcnt(0)
	v_mad_u64_u32 v[4:5], s[20:21], v2, 24, v[14:15]
	v_and_b32_e32 v1, v9, v11
	v_mov_b32_e32 v2, v5
	v_mad_u64_u32 v[8:9], s[20:21], v1, 24, v[2:3]
	v_mov_b32_e32 v5, v8
	global_load_dwordx2 v[8:9], v[4:5], off glc
	s_waitcnt vmcnt(0)
	global_atomic_cmpswap_x2 v[4:5], v43, v[8:11], s[2:3] offset:24 glc
	s_waitcnt vmcnt(0)
	buffer_invl2
	buffer_wbinvl1_vol
	v_cmp_eq_u64_e32 vcc, v[4:5], v[10:11]
	s_or_b64 s[18:19], vcc, s[18:19]
	s_andn2_b64 exec, exec, s[18:19]
	s_cbranch_execnz .LBB4_231
; %bb.232:                              ;   in Loop: Header=BB4_3 Depth=1
	s_or_b64 exec, exec, s[18:19]
.LBB4_233:                              ;   in Loop: Header=BB4_3 Depth=1
	s_or_b64 exec, exec, s[16:17]
.LBB4_234:                              ;   in Loop: Header=BB4_3 Depth=1
	s_or_b64 exec, exec, s[14:15]
	global_load_dwordx2 v[14:15], v43, s[2:3] offset:40
	global_load_dwordx4 v[8:11], v43, s[2:3]
	v_readfirstlane_b32 s14, v4
	v_readfirstlane_b32 s15, v5
	s_mov_b64 s[16:17], exec
	s_waitcnt vmcnt(1)
	v_readfirstlane_b32 s18, v14
	v_readfirstlane_b32 s19, v15
	s_and_b64 s[18:19], s[14:15], s[18:19]
	s_mul_i32 s20, s19, 24
	s_mul_hi_u32 s21, s18, 24
	s_mul_i32 s22, s18, 24
	s_add_i32 s20, s21, s20
	v_mov_b32_e32 v1, s20
	s_waitcnt vmcnt(0)
	v_add_co_u32_e32 v16, vcc, s22, v8
	v_addc_co_u32_e32 v17, vcc, v9, v1, vcc
	s_and_saveexec_b64 s[20:21], s[0:1]
	s_cbranch_execz .LBB4_236
; %bb.235:                              ;   in Loop: Header=BB4_3 Depth=1
	v_pk_mov_b32 v[4:5], s[16:17], s[16:17] op_sel:[0,1]
	global_store_dwordx4 v[16:17], v[4:7], off offset:8
.LBB4_236:                              ;   in Loop: Header=BB4_3 Depth=1
	s_or_b64 exec, exec, s[20:21]
	s_lshl_b64 s[16:17], s[18:19], 12
	v_mov_b32_e32 v1, s17
	v_add_co_u32_e32 v4, vcc, s16, v10
	v_addc_co_u32_e32 v1, vcc, v11, v1, vcc
	v_and_or_b32 v12, v12, s29, 32
	v_mov_b32_e32 v14, v3
	v_mov_b32_e32 v15, v3
	v_readfirstlane_b32 s16, v4
	v_readfirstlane_b32 s17, v1
	s_nop 4
	global_store_dwordx4 v45, v[12:15], s[16:17]
	s_nop 0
	v_pk_mov_b32 v[12:13], s[10:11], s[10:11] op_sel:[0,1]
	v_pk_mov_b32 v[10:11], s[8:9], s[8:9] op_sel:[0,1]
	global_store_dwordx4 v45, v[10:13], s[16:17] offset:16
	global_store_dwordx4 v45, v[10:13], s[16:17] offset:32
	;; [unrolled: 1-line block ×3, first 2 shown]
	s_and_saveexec_b64 s[16:17], s[0:1]
	s_cbranch_execz .LBB4_244
; %bb.237:                              ;   in Loop: Header=BB4_3 Depth=1
	global_load_dwordx2 v[20:21], v43, s[2:3] offset:32 glc
	global_load_dwordx2 v[10:11], v43, s[2:3] offset:40
	v_mov_b32_e32 v18, s14
	v_mov_b32_e32 v19, s15
	s_waitcnt vmcnt(0)
	v_readfirstlane_b32 s18, v10
	v_readfirstlane_b32 s19, v11
	s_and_b64 s[18:19], s[18:19], s[14:15]
	s_mul_i32 s19, s19, 24
	s_mul_hi_u32 s20, s18, 24
	s_mul_i32 s18, s18, 24
	s_add_i32 s19, s20, s19
	v_mov_b32_e32 v2, s19
	v_add_co_u32_e32 v12, vcc, s18, v8
	v_addc_co_u32_e32 v13, vcc, v9, v2, vcc
	global_store_dwordx2 v[12:13], v[20:21], off
	buffer_wbl2
	s_waitcnt vmcnt(0)
	global_atomic_cmpswap_x2 v[10:11], v43, v[18:21], s[2:3] offset:32 glc
	s_waitcnt vmcnt(0)
	v_cmp_ne_u64_e32 vcc, v[10:11], v[20:21]
	s_and_saveexec_b64 s[18:19], vcc
	s_cbranch_execz .LBB4_240
; %bb.238:                              ;   in Loop: Header=BB4_3 Depth=1
	s_mov_b64 s[20:21], 0
.LBB4_239:                              ;   Parent Loop BB4_3 Depth=1
                                        ; =>  This Inner Loop Header: Depth=2
	s_sleep 1
	global_store_dwordx2 v[12:13], v[10:11], off
	v_mov_b32_e32 v8, s14
	v_mov_b32_e32 v9, s15
	buffer_wbl2
	s_waitcnt vmcnt(0)
	global_atomic_cmpswap_x2 v[8:9], v43, v[8:11], s[2:3] offset:32 glc
	s_waitcnt vmcnt(0)
	v_cmp_eq_u64_e32 vcc, v[8:9], v[10:11]
	s_or_b64 s[20:21], vcc, s[20:21]
	v_pk_mov_b32 v[10:11], v[8:9], v[8:9] op_sel:[0,1]
	s_andn2_b64 exec, exec, s[20:21]
	s_cbranch_execnz .LBB4_239
.LBB4_240:                              ;   in Loop: Header=BB4_3 Depth=1
	s_or_b64 exec, exec, s[18:19]
	global_load_dwordx2 v[8:9], v43, s[2:3] offset:16
	s_mov_b64 s[20:21], exec
	v_mbcnt_lo_u32_b32 v2, s20, 0
	v_mbcnt_hi_u32_b32 v2, s21, v2
	v_cmp_eq_u32_e32 vcc, 0, v2
	s_and_saveexec_b64 s[18:19], vcc
	s_cbranch_execz .LBB4_242
; %bb.241:                              ;   in Loop: Header=BB4_3 Depth=1
	s_bcnt1_i32_b64 s20, s[20:21]
	v_mov_b32_e32 v2, s20
	buffer_wbl2
	s_waitcnt vmcnt(0)
	global_atomic_add_x2 v[8:9], v[2:3], off offset:8
.LBB4_242:                              ;   in Loop: Header=BB4_3 Depth=1
	s_or_b64 exec, exec, s[18:19]
	s_waitcnt vmcnt(0)
	global_load_dwordx2 v[10:11], v[8:9], off offset:16
	s_waitcnt vmcnt(0)
	v_cmp_eq_u64_e32 vcc, 0, v[10:11]
	s_cbranch_vccnz .LBB4_244
; %bb.243:                              ;   in Loop: Header=BB4_3 Depth=1
	global_load_dword v42, v[8:9], off offset:24
	s_waitcnt vmcnt(0)
	v_and_b32_e32 v2, 0xffffff, v42
	v_readfirstlane_b32 m0, v2
	buffer_wbl2
	global_store_dwordx2 v[10:11], v[42:43], off
	s_sendmsg sendmsg(MSG_INTERRUPT)
.LBB4_244:                              ;   in Loop: Header=BB4_3 Depth=1
	s_or_b64 exec, exec, s[16:17]
	v_add_co_u32_e32 v4, vcc, v4, v45
	v_addc_co_u32_e32 v5, vcc, 0, v1, vcc
	s_branch .LBB4_248
.LBB4_245:                              ;   in Loop: Header=BB4_248 Depth=2
	s_or_b64 exec, exec, s[16:17]
	v_readfirstlane_b32 s16, v1
	s_cmp_eq_u32 s16, 0
	s_cbranch_scc1 .LBB4_247
; %bb.246:                              ;   in Loop: Header=BB4_248 Depth=2
	s_sleep 1
	s_cbranch_execnz .LBB4_248
	s_branch .LBB4_250
.LBB4_247:                              ;   in Loop: Header=BB4_3 Depth=1
	s_branch .LBB4_250
.LBB4_248:                              ;   Parent Loop BB4_3 Depth=1
                                        ; =>  This Inner Loop Header: Depth=2
	v_mov_b32_e32 v1, 1
	s_and_saveexec_b64 s[16:17], s[0:1]
	s_cbranch_execz .LBB4_245
; %bb.249:                              ;   in Loop: Header=BB4_248 Depth=2
	global_load_dword v1, v[16:17], off offset:20 glc
	s_waitcnt vmcnt(0)
	buffer_invl2
	buffer_wbinvl1_vol
	v_and_b32_e32 v1, 1, v1
	s_branch .LBB4_245
.LBB4_250:                              ;   in Loop: Header=BB4_3 Depth=1
	global_load_dwordx2 v[8:9], v[4:5], off
	s_and_saveexec_b64 s[16:17], s[0:1]
	s_cbranch_execz .LBB4_254
; %bb.251:                              ;   in Loop: Header=BB4_3 Depth=1
	global_load_dwordx2 v[4:5], v43, s[2:3] offset:40
	global_load_dwordx2 v[14:15], v43, s[2:3] offset:24 glc
	global_load_dwordx2 v[16:17], v43, s[2:3]
	v_mov_b32_e32 v1, s15
	s_waitcnt vmcnt(2)
	v_add_co_u32_e32 v2, vcc, 1, v4
	v_addc_co_u32_e32 v13, vcc, 0, v5, vcc
	v_add_co_u32_e32 v10, vcc, s14, v2
	v_addc_co_u32_e32 v11, vcc, v13, v1, vcc
	v_cmp_eq_u64_e32 vcc, 0, v[10:11]
	v_cndmask_b32_e32 v11, v11, v13, vcc
	v_cndmask_b32_e32 v10, v10, v2, vcc
	v_and_b32_e32 v1, v11, v5
	v_and_b32_e32 v2, v10, v4
	v_mul_lo_u32 v1, v1, 24
	v_mul_hi_u32 v4, v2, 24
	v_mul_lo_u32 v2, v2, 24
	v_add_u32_e32 v1, v4, v1
	s_waitcnt vmcnt(0)
	v_add_co_u32_e32 v4, vcc, v16, v2
	v_addc_co_u32_e32 v5, vcc, v17, v1, vcc
	v_mov_b32_e32 v12, v14
	global_store_dwordx2 v[4:5], v[14:15], off
	v_mov_b32_e32 v13, v15
	buffer_wbl2
	s_waitcnt vmcnt(0)
	global_atomic_cmpswap_x2 v[12:13], v43, v[10:13], s[2:3] offset:24 glc
	s_waitcnt vmcnt(0)
	v_cmp_ne_u64_e32 vcc, v[12:13], v[14:15]
	s_and_b64 exec, exec, vcc
	s_cbranch_execz .LBB4_254
; %bb.252:                              ;   in Loop: Header=BB4_3 Depth=1
	s_mov_b64 s[0:1], 0
.LBB4_253:                              ;   Parent Loop BB4_3 Depth=1
                                        ; =>  This Inner Loop Header: Depth=2
	s_sleep 1
	global_store_dwordx2 v[4:5], v[12:13], off
	buffer_wbl2
	s_waitcnt vmcnt(0)
	global_atomic_cmpswap_x2 v[14:15], v43, v[10:13], s[2:3] offset:24 glc
	s_waitcnt vmcnt(0)
	v_cmp_eq_u64_e32 vcc, v[14:15], v[12:13]
	s_or_b64 s[0:1], vcc, s[0:1]
	v_pk_mov_b32 v[12:13], v[14:15], v[14:15] op_sel:[0,1]
	s_andn2_b64 exec, exec, s[0:1]
	s_cbranch_execnz .LBB4_253
.LBB4_254:                              ;   in Loop: Header=BB4_3 Depth=1
	s_or_b64 exec, exec, s[16:17]
.LBB4_255:                              ;   in Loop: Header=BB4_3 Depth=1
	v_readfirstlane_b32 s0, v40
	v_cmp_eq_u32_e64 s[0:1], s0, v40
	v_pk_mov_b32 v[4:5], 0, 0
	s_and_saveexec_b64 s[14:15], s[0:1]
	s_cbranch_execz .LBB4_261
; %bb.256:                              ;   in Loop: Header=BB4_3 Depth=1
	global_load_dwordx2 v[12:13], v43, s[2:3] offset:24 glc
	s_waitcnt vmcnt(0)
	buffer_invl2
	buffer_wbinvl1_vol
	global_load_dwordx2 v[4:5], v43, s[2:3] offset:40
	global_load_dwordx2 v[10:11], v43, s[2:3]
	s_waitcnt vmcnt(1)
	v_and_b32_e32 v1, v4, v12
	v_and_b32_e32 v2, v5, v13
	v_mul_lo_u32 v2, v2, 24
	v_mul_hi_u32 v4, v1, 24
	v_mul_lo_u32 v1, v1, 24
	v_add_u32_e32 v2, v4, v2
	s_waitcnt vmcnt(0)
	v_add_co_u32_e32 v4, vcc, v10, v1
	v_addc_co_u32_e32 v5, vcc, v11, v2, vcc
	global_load_dwordx2 v[10:11], v[4:5], off glc
	s_waitcnt vmcnt(0)
	global_atomic_cmpswap_x2 v[4:5], v43, v[10:13], s[2:3] offset:24 glc
	s_waitcnt vmcnt(0)
	buffer_invl2
	buffer_wbinvl1_vol
	v_cmp_ne_u64_e32 vcc, v[4:5], v[12:13]
	s_and_saveexec_b64 s[16:17], vcc
	s_cbranch_execz .LBB4_260
; %bb.257:                              ;   in Loop: Header=BB4_3 Depth=1
	s_mov_b64 s[18:19], 0
.LBB4_258:                              ;   Parent Loop BB4_3 Depth=1
                                        ; =>  This Inner Loop Header: Depth=2
	s_sleep 1
	global_load_dwordx2 v[10:11], v43, s[2:3] offset:40
	global_load_dwordx2 v[14:15], v43, s[2:3]
	v_pk_mov_b32 v[12:13], v[4:5], v[4:5] op_sel:[0,1]
	s_waitcnt vmcnt(1)
	v_and_b32_e32 v2, v10, v12
	s_waitcnt vmcnt(0)
	v_mad_u64_u32 v[4:5], s[20:21], v2, 24, v[14:15]
	v_and_b32_e32 v1, v11, v13
	v_mov_b32_e32 v2, v5
	v_mad_u64_u32 v[10:11], s[20:21], v1, 24, v[2:3]
	v_mov_b32_e32 v5, v10
	global_load_dwordx2 v[10:11], v[4:5], off glc
	s_waitcnt vmcnt(0)
	global_atomic_cmpswap_x2 v[4:5], v43, v[10:13], s[2:3] offset:24 glc
	s_waitcnt vmcnt(0)
	buffer_invl2
	buffer_wbinvl1_vol
	v_cmp_eq_u64_e32 vcc, v[4:5], v[12:13]
	s_or_b64 s[18:19], vcc, s[18:19]
	s_andn2_b64 exec, exec, s[18:19]
	s_cbranch_execnz .LBB4_258
; %bb.259:                              ;   in Loop: Header=BB4_3 Depth=1
	s_or_b64 exec, exec, s[18:19]
.LBB4_260:                              ;   in Loop: Header=BB4_3 Depth=1
	s_or_b64 exec, exec, s[16:17]
.LBB4_261:                              ;   in Loop: Header=BB4_3 Depth=1
	s_or_b64 exec, exec, s[14:15]
	global_load_dwordx2 v[10:11], v43, s[2:3] offset:40
	global_load_dwordx4 v[12:15], v43, s[2:3]
	v_readfirstlane_b32 s14, v4
	v_readfirstlane_b32 s15, v5
	s_mov_b64 s[16:17], exec
	s_waitcnt vmcnt(1)
	v_readfirstlane_b32 s18, v10
	v_readfirstlane_b32 s19, v11
	s_and_b64 s[18:19], s[14:15], s[18:19]
	s_mul_i32 s20, s19, 24
	s_mul_hi_u32 s21, s18, 24
	s_mul_i32 s22, s18, 24
	s_add_i32 s20, s21, s20
	v_mov_b32_e32 v1, s20
	s_waitcnt vmcnt(0)
	v_add_co_u32_e32 v16, vcc, s22, v12
	v_addc_co_u32_e32 v17, vcc, v13, v1, vcc
	s_and_saveexec_b64 s[20:21], s[0:1]
	s_cbranch_execz .LBB4_263
; %bb.262:                              ;   in Loop: Header=BB4_3 Depth=1
	v_pk_mov_b32 v[4:5], s[16:17], s[16:17] op_sel:[0,1]
	global_store_dwordx4 v[16:17], v[4:7], off offset:8
.LBB4_263:                              ;   in Loop: Header=BB4_3 Depth=1
	s_or_b64 exec, exec, s[20:21]
	s_lshl_b64 s[16:17], s[18:19], 12
	v_mov_b32_e32 v1, s17
	v_add_co_u32_e32 v4, vcc, s16, v14
	v_addc_co_u32_e32 v1, vcc, v15, v1, vcc
	v_pk_mov_b32 v[20:21], s[10:11], s[10:11] op_sel:[0,1]
	v_add_u32_e32 v10, s31, v38
	v_and_or_b32 v8, v8, s30, 34
	v_mov_b32_e32 v11, v3
	v_readfirstlane_b32 s16, v4
	v_readfirstlane_b32 s17, v1
	v_pk_mov_b32 v[18:19], s[8:9], s[8:9] op_sel:[0,1]
	s_nop 3
	global_store_dwordx4 v45, v[8:11], s[16:17]
	global_store_dwordx4 v45, v[18:21], s[16:17] offset:16
	global_store_dwordx4 v45, v[18:21], s[16:17] offset:32
	;; [unrolled: 1-line block ×3, first 2 shown]
	s_and_saveexec_b64 s[16:17], s[0:1]
	s_cbranch_execz .LBB4_271
; %bb.264:                              ;   in Loop: Header=BB4_3 Depth=1
	global_load_dwordx2 v[20:21], v43, s[2:3] offset:32 glc
	global_load_dwordx2 v[8:9], v43, s[2:3] offset:40
	v_mov_b32_e32 v18, s14
	v_mov_b32_e32 v19, s15
	s_waitcnt vmcnt(0)
	v_readfirstlane_b32 s18, v8
	v_readfirstlane_b32 s19, v9
	s_and_b64 s[18:19], s[18:19], s[14:15]
	s_mul_i32 s19, s19, 24
	s_mul_hi_u32 s20, s18, 24
	s_mul_i32 s18, s18, 24
	s_add_i32 s19, s20, s19
	v_mov_b32_e32 v2, s19
	v_add_co_u32_e32 v8, vcc, s18, v12
	v_addc_co_u32_e32 v9, vcc, v13, v2, vcc
	global_store_dwordx2 v[8:9], v[20:21], off
	buffer_wbl2
	s_waitcnt vmcnt(0)
	global_atomic_cmpswap_x2 v[14:15], v43, v[18:21], s[2:3] offset:32 glc
	s_waitcnt vmcnt(0)
	v_cmp_ne_u64_e32 vcc, v[14:15], v[20:21]
	s_and_saveexec_b64 s[18:19], vcc
	s_cbranch_execz .LBB4_267
; %bb.265:                              ;   in Loop: Header=BB4_3 Depth=1
	s_mov_b64 s[20:21], 0
.LBB4_266:                              ;   Parent Loop BB4_3 Depth=1
                                        ; =>  This Inner Loop Header: Depth=2
	s_sleep 1
	global_store_dwordx2 v[8:9], v[14:15], off
	v_mov_b32_e32 v12, s14
	v_mov_b32_e32 v13, s15
	buffer_wbl2
	s_waitcnt vmcnt(0)
	global_atomic_cmpswap_x2 v[12:13], v43, v[12:15], s[2:3] offset:32 glc
	s_waitcnt vmcnt(0)
	v_cmp_eq_u64_e32 vcc, v[12:13], v[14:15]
	s_or_b64 s[20:21], vcc, s[20:21]
	v_pk_mov_b32 v[14:15], v[12:13], v[12:13] op_sel:[0,1]
	s_andn2_b64 exec, exec, s[20:21]
	s_cbranch_execnz .LBB4_266
.LBB4_267:                              ;   in Loop: Header=BB4_3 Depth=1
	s_or_b64 exec, exec, s[18:19]
	global_load_dwordx2 v[8:9], v43, s[2:3] offset:16
	s_mov_b64 s[20:21], exec
	v_mbcnt_lo_u32_b32 v2, s20, 0
	v_mbcnt_hi_u32_b32 v2, s21, v2
	v_cmp_eq_u32_e32 vcc, 0, v2
	s_and_saveexec_b64 s[18:19], vcc
	s_cbranch_execz .LBB4_269
; %bb.268:                              ;   in Loop: Header=BB4_3 Depth=1
	s_bcnt1_i32_b64 s20, s[20:21]
	v_mov_b32_e32 v2, s20
	buffer_wbl2
	s_waitcnt vmcnt(0)
	global_atomic_add_x2 v[8:9], v[2:3], off offset:8
.LBB4_269:                              ;   in Loop: Header=BB4_3 Depth=1
	s_or_b64 exec, exec, s[18:19]
	s_waitcnt vmcnt(0)
	global_load_dwordx2 v[12:13], v[8:9], off offset:16
	s_waitcnt vmcnt(0)
	v_cmp_eq_u64_e32 vcc, 0, v[12:13]
	s_cbranch_vccnz .LBB4_271
; %bb.270:                              ;   in Loop: Header=BB4_3 Depth=1
	global_load_dword v42, v[8:9], off offset:24
	s_waitcnt vmcnt(0)
	v_and_b32_e32 v2, 0xffffff, v42
	v_readfirstlane_b32 m0, v2
	buffer_wbl2
	global_store_dwordx2 v[12:13], v[42:43], off
	s_sendmsg sendmsg(MSG_INTERRUPT)
.LBB4_271:                              ;   in Loop: Header=BB4_3 Depth=1
	s_or_b64 exec, exec, s[16:17]
	v_add_co_u32_e32 v4, vcc, v4, v45
	v_addc_co_u32_e32 v5, vcc, 0, v1, vcc
	s_branch .LBB4_275
.LBB4_272:                              ;   in Loop: Header=BB4_275 Depth=2
	s_or_b64 exec, exec, s[16:17]
	v_readfirstlane_b32 s16, v1
	s_cmp_eq_u32 s16, 0
	s_cbranch_scc1 .LBB4_274
; %bb.273:                              ;   in Loop: Header=BB4_275 Depth=2
	s_sleep 1
	s_cbranch_execnz .LBB4_275
	s_branch .LBB4_277
.LBB4_274:                              ;   in Loop: Header=BB4_3 Depth=1
	s_branch .LBB4_277
.LBB4_275:                              ;   Parent Loop BB4_3 Depth=1
                                        ; =>  This Inner Loop Header: Depth=2
	v_mov_b32_e32 v1, 1
	s_and_saveexec_b64 s[16:17], s[0:1]
	s_cbranch_execz .LBB4_272
; %bb.276:                              ;   in Loop: Header=BB4_275 Depth=2
	global_load_dword v1, v[16:17], off offset:20 glc
	s_waitcnt vmcnt(0)
	buffer_invl2
	buffer_wbinvl1_vol
	v_and_b32_e32 v1, 1, v1
	s_branch .LBB4_272
.LBB4_277:                              ;   in Loop: Header=BB4_3 Depth=1
	global_load_dwordx2 v[46:47], v[4:5], off
	s_and_saveexec_b64 s[16:17], s[0:1]
	s_cbranch_execz .LBB4_281
; %bb.278:                              ;   in Loop: Header=BB4_3 Depth=1
	global_load_dwordx2 v[4:5], v43, s[2:3] offset:40
	global_load_dwordx2 v[8:9], v43, s[2:3] offset:24 glc
	global_load_dwordx2 v[16:17], v43, s[2:3]
	v_mov_b32_e32 v1, s15
	s_waitcnt vmcnt(2)
	v_add_co_u32_e32 v2, vcc, 1, v4
	v_addc_co_u32_e32 v11, vcc, 0, v5, vcc
	v_add_co_u32_e32 v12, vcc, s14, v2
	v_addc_co_u32_e32 v13, vcc, v11, v1, vcc
	v_cmp_eq_u64_e32 vcc, 0, v[12:13]
	v_cndmask_b32_e32 v13, v13, v11, vcc
	v_cndmask_b32_e32 v12, v12, v2, vcc
	v_and_b32_e32 v1, v13, v5
	v_and_b32_e32 v2, v12, v4
	v_mul_lo_u32 v1, v1, 24
	v_mul_hi_u32 v4, v2, 24
	v_mul_lo_u32 v2, v2, 24
	v_add_u32_e32 v1, v4, v1
	s_waitcnt vmcnt(0)
	v_add_co_u32_e32 v4, vcc, v16, v2
	v_addc_co_u32_e32 v5, vcc, v17, v1, vcc
	v_mov_b32_e32 v14, v8
	global_store_dwordx2 v[4:5], v[8:9], off
	v_mov_b32_e32 v15, v9
	buffer_wbl2
	s_waitcnt vmcnt(0)
	global_atomic_cmpswap_x2 v[14:15], v43, v[12:15], s[2:3] offset:24 glc
	s_waitcnt vmcnt(0)
	v_cmp_ne_u64_e32 vcc, v[14:15], v[8:9]
	s_and_b64 exec, exec, vcc
	s_cbranch_execz .LBB4_281
; %bb.279:                              ;   in Loop: Header=BB4_3 Depth=1
	s_mov_b64 s[0:1], 0
.LBB4_280:                              ;   Parent Loop BB4_3 Depth=1
                                        ; =>  This Inner Loop Header: Depth=2
	s_sleep 1
	global_store_dwordx2 v[4:5], v[14:15], off
	buffer_wbl2
	s_waitcnt vmcnt(0)
	global_atomic_cmpswap_x2 v[8:9], v43, v[12:15], s[2:3] offset:24 glc
	s_waitcnt vmcnt(0)
	v_cmp_eq_u64_e32 vcc, v[8:9], v[14:15]
	s_or_b64 s[0:1], vcc, s[0:1]
	v_pk_mov_b32 v[14:15], v[8:9], v[8:9] op_sel:[0,1]
	s_andn2_b64 exec, exec, s[0:1]
	s_cbranch_execnz .LBB4_280
.LBB4_281:                              ;   in Loop: Header=BB4_3 Depth=1
	s_or_b64 exec, exec, s[16:17]
	v_readfirstlane_b32 s0, v40
	v_cmp_eq_u32_e64 s[0:1], s0, v40
	v_pk_mov_b32 v[4:5], 0, 0
	s_and_saveexec_b64 s[14:15], s[0:1]
	s_cbranch_execz .LBB4_287
; %bb.282:                              ;   in Loop: Header=BB4_3 Depth=1
	global_load_dwordx2 v[14:15], v43, s[2:3] offset:24 glc
	s_waitcnt vmcnt(0)
	buffer_invl2
	buffer_wbinvl1_vol
	global_load_dwordx2 v[4:5], v43, s[2:3] offset:40
	global_load_dwordx2 v[8:9], v43, s[2:3]
	s_waitcnt vmcnt(1)
	v_and_b32_e32 v1, v4, v14
	v_and_b32_e32 v2, v5, v15
	v_mul_lo_u32 v2, v2, 24
	v_mul_hi_u32 v4, v1, 24
	v_mul_lo_u32 v1, v1, 24
	v_add_u32_e32 v2, v4, v2
	s_waitcnt vmcnt(0)
	v_add_co_u32_e32 v4, vcc, v8, v1
	v_addc_co_u32_e32 v5, vcc, v9, v2, vcc
	global_load_dwordx2 v[12:13], v[4:5], off glc
	s_waitcnt vmcnt(0)
	global_atomic_cmpswap_x2 v[4:5], v43, v[12:15], s[2:3] offset:24 glc
	s_waitcnt vmcnt(0)
	buffer_invl2
	buffer_wbinvl1_vol
	v_cmp_ne_u64_e32 vcc, v[4:5], v[14:15]
	s_and_saveexec_b64 s[16:17], vcc
	s_cbranch_execz .LBB4_286
; %bb.283:                              ;   in Loop: Header=BB4_3 Depth=1
	s_mov_b64 s[18:19], 0
.LBB4_284:                              ;   Parent Loop BB4_3 Depth=1
                                        ; =>  This Inner Loop Header: Depth=2
	s_sleep 1
	global_load_dwordx2 v[8:9], v43, s[2:3] offset:40
	global_load_dwordx2 v[12:13], v43, s[2:3]
	v_pk_mov_b32 v[14:15], v[4:5], v[4:5] op_sel:[0,1]
	s_waitcnt vmcnt(1)
	v_and_b32_e32 v2, v8, v14
	s_waitcnt vmcnt(0)
	v_mad_u64_u32 v[4:5], s[20:21], v2, 24, v[12:13]
	v_and_b32_e32 v1, v9, v15
	v_mov_b32_e32 v2, v5
	v_mad_u64_u32 v[8:9], s[20:21], v1, 24, v[2:3]
	v_mov_b32_e32 v5, v8
	global_load_dwordx2 v[12:13], v[4:5], off glc
	s_waitcnt vmcnt(0)
	global_atomic_cmpswap_x2 v[4:5], v43, v[12:15], s[2:3] offset:24 glc
	s_waitcnt vmcnt(0)
	buffer_invl2
	buffer_wbinvl1_vol
	v_cmp_eq_u64_e32 vcc, v[4:5], v[14:15]
	s_or_b64 s[18:19], vcc, s[18:19]
	s_andn2_b64 exec, exec, s[18:19]
	s_cbranch_execnz .LBB4_284
; %bb.285:                              ;   in Loop: Header=BB4_3 Depth=1
	s_or_b64 exec, exec, s[18:19]
.LBB4_286:                              ;   in Loop: Header=BB4_3 Depth=1
	s_or_b64 exec, exec, s[16:17]
.LBB4_287:                              ;   in Loop: Header=BB4_3 Depth=1
	s_or_b64 exec, exec, s[14:15]
	global_load_dwordx2 v[8:9], v43, s[2:3] offset:40
	global_load_dwordx4 v[12:15], v43, s[2:3]
	v_readfirstlane_b32 s14, v4
	v_readfirstlane_b32 s15, v5
	s_mov_b64 s[16:17], exec
	s_waitcnt vmcnt(1)
	v_readfirstlane_b32 s18, v8
	v_readfirstlane_b32 s19, v9
	s_and_b64 s[18:19], s[14:15], s[18:19]
	s_mul_i32 s20, s19, 24
	s_mul_hi_u32 s21, s18, 24
	s_mul_i32 s22, s18, 24
	s_add_i32 s20, s21, s20
	v_mov_b32_e32 v1, s20
	s_waitcnt vmcnt(0)
	v_add_co_u32_e32 v8, vcc, s22, v12
	v_addc_co_u32_e32 v9, vcc, v13, v1, vcc
	s_and_saveexec_b64 s[20:21], s[0:1]
	s_cbranch_execz .LBB4_289
; %bb.288:                              ;   in Loop: Header=BB4_3 Depth=1
	v_pk_mov_b32 v[4:5], s[16:17], s[16:17] op_sel:[0,1]
	global_store_dwordx4 v[8:9], v[4:7], off offset:8
.LBB4_289:                              ;   in Loop: Header=BB4_3 Depth=1
	s_or_b64 exec, exec, s[20:21]
	s_lshl_b64 s[16:17], s[18:19], 12
	v_mov_b32_e32 v1, s17
	v_add_co_u32_e32 v4, vcc, s16, v14
	v_addc_co_u32_e32 v5, vcc, v15, v1, vcc
	v_pk_mov_b32 v[16:17], s[10:11], s[10:11] op_sel:[0,1]
	v_mov_b32_e32 v1, v3
	v_mov_b32_e32 v2, v3
	v_readfirstlane_b32 s16, v4
	v_readfirstlane_b32 s17, v5
	v_pk_mov_b32 v[14:15], s[8:9], s[8:9] op_sel:[0,1]
	s_nop 3
	global_store_dwordx4 v45, v[0:3], s[16:17]
	global_store_dwordx4 v45, v[14:17], s[16:17] offset:16
	global_store_dwordx4 v45, v[14:17], s[16:17] offset:32
	;; [unrolled: 1-line block ×3, first 2 shown]
	s_and_saveexec_b64 s[16:17], s[0:1]
	s_cbranch_execz .LBB4_297
; %bb.290:                              ;   in Loop: Header=BB4_3 Depth=1
	global_load_dwordx2 v[20:21], v43, s[2:3] offset:32 glc
	global_load_dwordx2 v[14:15], v43, s[2:3] offset:40
	v_mov_b32_e32 v18, s14
	v_mov_b32_e32 v19, s15
	s_waitcnt vmcnt(0)
	v_readfirstlane_b32 s18, v14
	v_readfirstlane_b32 s19, v15
	s_and_b64 s[18:19], s[18:19], s[14:15]
	s_mul_i32 s19, s19, 24
	s_mul_hi_u32 s20, s18, 24
	s_mul_i32 s18, s18, 24
	s_add_i32 s19, s20, s19
	v_mov_b32_e32 v1, s19
	v_add_co_u32_e32 v16, vcc, s18, v12
	v_addc_co_u32_e32 v17, vcc, v13, v1, vcc
	global_store_dwordx2 v[16:17], v[20:21], off
	buffer_wbl2
	s_waitcnt vmcnt(0)
	global_atomic_cmpswap_x2 v[14:15], v43, v[18:21], s[2:3] offset:32 glc
	s_waitcnt vmcnt(0)
	v_cmp_ne_u64_e32 vcc, v[14:15], v[20:21]
	s_and_saveexec_b64 s[18:19], vcc
	s_cbranch_execz .LBB4_293
; %bb.291:                              ;   in Loop: Header=BB4_3 Depth=1
	s_mov_b64 s[20:21], 0
.LBB4_292:                              ;   Parent Loop BB4_3 Depth=1
                                        ; =>  This Inner Loop Header: Depth=2
	s_sleep 1
	global_store_dwordx2 v[16:17], v[14:15], off
	v_mov_b32_e32 v12, s14
	v_mov_b32_e32 v13, s15
	buffer_wbl2
	s_waitcnt vmcnt(0)
	global_atomic_cmpswap_x2 v[12:13], v43, v[12:15], s[2:3] offset:32 glc
	s_waitcnt vmcnt(0)
	v_cmp_eq_u64_e32 vcc, v[12:13], v[14:15]
	s_or_b64 s[20:21], vcc, s[20:21]
	v_pk_mov_b32 v[14:15], v[12:13], v[12:13] op_sel:[0,1]
	s_andn2_b64 exec, exec, s[20:21]
	s_cbranch_execnz .LBB4_292
.LBB4_293:                              ;   in Loop: Header=BB4_3 Depth=1
	s_or_b64 exec, exec, s[18:19]
	global_load_dwordx2 v[12:13], v43, s[2:3] offset:16
	s_mov_b64 s[20:21], exec
	v_mbcnt_lo_u32_b32 v1, s20, 0
	v_mbcnt_hi_u32_b32 v1, s21, v1
	v_cmp_eq_u32_e32 vcc, 0, v1
	s_and_saveexec_b64 s[18:19], vcc
	s_cbranch_execz .LBB4_295
; %bb.294:                              ;   in Loop: Header=BB4_3 Depth=1
	s_bcnt1_i32_b64 s20, s[20:21]
	v_mov_b32_e32 v2, s20
	buffer_wbl2
	s_waitcnt vmcnt(0)
	global_atomic_add_x2 v[12:13], v[2:3], off offset:8
.LBB4_295:                              ;   in Loop: Header=BB4_3 Depth=1
	s_or_b64 exec, exec, s[18:19]
	s_waitcnt vmcnt(0)
	global_load_dwordx2 v[14:15], v[12:13], off offset:16
	s_waitcnt vmcnt(0)
	v_cmp_eq_u64_e32 vcc, 0, v[14:15]
	s_cbranch_vccnz .LBB4_297
; %bb.296:                              ;   in Loop: Header=BB4_3 Depth=1
	global_load_dword v42, v[12:13], off offset:24
	s_waitcnt vmcnt(0)
	v_and_b32_e32 v1, 0xffffff, v42
	v_readfirstlane_b32 m0, v1
	buffer_wbl2
	global_store_dwordx2 v[14:15], v[42:43], off
	s_sendmsg sendmsg(MSG_INTERRUPT)
.LBB4_297:                              ;   in Loop: Header=BB4_3 Depth=1
	s_or_b64 exec, exec, s[16:17]
	v_add_co_u32_e32 v4, vcc, v4, v45
	v_addc_co_u32_e32 v5, vcc, 0, v5, vcc
	s_branch .LBB4_301
.LBB4_298:                              ;   in Loop: Header=BB4_301 Depth=2
	s_or_b64 exec, exec, s[16:17]
	v_readfirstlane_b32 s16, v1
	s_cmp_eq_u32 s16, 0
	s_cbranch_scc1 .LBB4_300
; %bb.299:                              ;   in Loop: Header=BB4_301 Depth=2
	s_sleep 1
	s_cbranch_execnz .LBB4_301
	s_branch .LBB4_303
.LBB4_300:                              ;   in Loop: Header=BB4_3 Depth=1
	s_branch .LBB4_303
.LBB4_301:                              ;   Parent Loop BB4_3 Depth=1
                                        ; =>  This Inner Loop Header: Depth=2
	v_mov_b32_e32 v1, 1
	s_and_saveexec_b64 s[16:17], s[0:1]
	s_cbranch_execz .LBB4_298
; %bb.302:                              ;   in Loop: Header=BB4_301 Depth=2
	global_load_dword v1, v[8:9], off offset:20 glc
	s_waitcnt vmcnt(0)
	buffer_invl2
	buffer_wbinvl1_vol
	v_and_b32_e32 v1, 1, v1
	s_branch .LBB4_298
.LBB4_303:                              ;   in Loop: Header=BB4_3 Depth=1
	global_load_dwordx2 v[16:17], v[4:5], off
	s_and_saveexec_b64 s[16:17], s[0:1]
	s_cbranch_execz .LBB4_307
; %bb.304:                              ;   in Loop: Header=BB4_3 Depth=1
	global_load_dwordx2 v[4:5], v43, s[2:3] offset:40
	global_load_dwordx2 v[8:9], v43, s[2:3] offset:24 glc
	global_load_dwordx2 v[18:19], v43, s[2:3]
	v_mov_b32_e32 v1, s15
	s_waitcnt vmcnt(2)
	v_add_co_u32_e32 v2, vcc, 1, v4
	v_addc_co_u32_e32 v11, vcc, 0, v5, vcc
	v_add_co_u32_e32 v12, vcc, s14, v2
	v_addc_co_u32_e32 v13, vcc, v11, v1, vcc
	v_cmp_eq_u64_e32 vcc, 0, v[12:13]
	v_cndmask_b32_e32 v13, v13, v11, vcc
	v_cndmask_b32_e32 v12, v12, v2, vcc
	v_and_b32_e32 v1, v13, v5
	v_and_b32_e32 v2, v12, v4
	v_mul_lo_u32 v1, v1, 24
	v_mul_hi_u32 v4, v2, 24
	v_mul_lo_u32 v2, v2, 24
	v_add_u32_e32 v1, v4, v1
	s_waitcnt vmcnt(0)
	v_add_co_u32_e32 v4, vcc, v18, v2
	v_addc_co_u32_e32 v5, vcc, v19, v1, vcc
	v_mov_b32_e32 v14, v8
	global_store_dwordx2 v[4:5], v[8:9], off
	v_mov_b32_e32 v15, v9
	buffer_wbl2
	s_waitcnt vmcnt(0)
	global_atomic_cmpswap_x2 v[14:15], v43, v[12:15], s[2:3] offset:24 glc
	s_waitcnt vmcnt(0)
	v_cmp_ne_u64_e32 vcc, v[14:15], v[8:9]
	s_and_b64 exec, exec, vcc
	s_cbranch_execz .LBB4_307
; %bb.305:                              ;   in Loop: Header=BB4_3 Depth=1
	s_mov_b64 s[0:1], 0
.LBB4_306:                              ;   Parent Loop BB4_3 Depth=1
                                        ; =>  This Inner Loop Header: Depth=2
	s_sleep 1
	global_store_dwordx2 v[4:5], v[14:15], off
	buffer_wbl2
	s_waitcnt vmcnt(0)
	global_atomic_cmpswap_x2 v[8:9], v43, v[12:15], s[2:3] offset:24 glc
	s_waitcnt vmcnt(0)
	v_cmp_eq_u64_e32 vcc, v[8:9], v[14:15]
	s_or_b64 s[0:1], vcc, s[0:1]
	v_pk_mov_b32 v[14:15], v[8:9], v[8:9] op_sel:[0,1]
	s_andn2_b64 exec, exec, s[0:1]
	s_cbranch_execnz .LBB4_306
.LBB4_307:                              ;   in Loop: Header=BB4_3 Depth=1
	s_or_b64 exec, exec, s[16:17]
	s_and_b64 vcc, exec, s[6:7]
	s_cbranch_vccz .LBB4_477
; %bb.308:                              ;   in Loop: Header=BB4_3 Depth=1
	s_waitcnt vmcnt(0)
	v_and_b32_e32 v8, 2, v16
	v_and_b32_e32 v12, -3, v16
	v_mov_b32_e32 v13, v17
	s_mov_b64 s[16:17], 6
	s_getpc_b64 s[14:15]
	s_add_u32 s14, s14, .str.7@rel32@lo+4
	s_addc_u32 s15, s15, .str.7@rel32@hi+12
	s_branch .LBB4_310
.LBB4_309:                              ;   in Loop: Header=BB4_310 Depth=2
	s_or_b64 exec, exec, s[22:23]
	s_sub_u32 s16, s16, s18
	s_subb_u32 s17, s17, s19
	s_add_u32 s14, s14, s18
	s_addc_u32 s15, s15, s19
	s_cmp_lg_u64 s[16:17], 0
	s_cbranch_scc0 .LBB4_391
.LBB4_310:                              ;   Parent Loop BB4_3 Depth=1
                                        ; =>  This Loop Header: Depth=2
                                        ;       Child Loop BB4_313 Depth 3
                                        ;       Child Loop BB4_320 Depth 3
	;; [unrolled: 1-line block ×11, first 2 shown]
	v_cmp_lt_u64_e64 s[0:1], s[16:17], 56
	s_and_b64 s[0:1], s[0:1], exec
	v_cmp_gt_u64_e64 s[0:1], s[16:17], 7
	s_cselect_b32 s19, s17, 0
	s_cselect_b32 s18, s16, 56
	s_and_b64 vcc, exec, s[0:1]
	s_cbranch_vccnz .LBB4_315
; %bb.311:                              ;   in Loop: Header=BB4_310 Depth=2
	s_mov_b64 s[0:1], 0
	s_cmp_eq_u64 s[16:17], 0
	s_waitcnt vmcnt(0)
	v_pk_mov_b32 v[14:15], 0, 0
	s_cbranch_scc1 .LBB4_314
; %bb.312:                              ;   in Loop: Header=BB4_310 Depth=2
	s_lshl_b64 s[20:21], s[18:19], 3
	s_mov_b64 s[22:23], 0
	v_pk_mov_b32 v[14:15], 0, 0
	s_mov_b64 s[24:25], s[14:15]
.LBB4_313:                              ;   Parent Loop BB4_3 Depth=1
                                        ;     Parent Loop BB4_310 Depth=2
                                        ; =>    This Inner Loop Header: Depth=3
	global_load_ubyte v1, v43, s[24:25]
	s_waitcnt vmcnt(0)
	v_and_b32_e32 v42, 0xffff, v1
	v_lshlrev_b64 v[4:5], s22, v[42:43]
	s_add_u32 s22, s22, 8
	s_addc_u32 s23, s23, 0
	s_add_u32 s24, s24, 1
	s_addc_u32 s25, s25, 0
	v_or_b32_e32 v14, v4, v14
	s_cmp_lg_u32 s20, s22
	v_or_b32_e32 v15, v5, v15
	s_cbranch_scc1 .LBB4_313
.LBB4_314:                              ;   in Loop: Header=BB4_310 Depth=2
	s_mov_b32 s24, 0
	s_andn2_b64 vcc, exec, s[0:1]
	s_mov_b64 s[0:1], s[14:15]
	s_cbranch_vccz .LBB4_316
	s_branch .LBB4_317
.LBB4_315:                              ;   in Loop: Header=BB4_310 Depth=2
                                        ; implicit-def: $vgpr14_vgpr15
                                        ; implicit-def: $sgpr24
	s_mov_b64 s[0:1], s[14:15]
.LBB4_316:                              ;   in Loop: Header=BB4_310 Depth=2
	global_load_dwordx2 v[14:15], v43, s[14:15]
	s_add_i32 s24, s18, -8
	s_add_u32 s0, s14, 8
	s_addc_u32 s1, s15, 0
.LBB4_317:                              ;   in Loop: Header=BB4_310 Depth=2
	s_cmp_gt_u32 s24, 7
	s_cbranch_scc1 .LBB4_321
; %bb.318:                              ;   in Loop: Header=BB4_310 Depth=2
	s_cmp_eq_u32 s24, 0
	s_cbranch_scc1 .LBB4_322
; %bb.319:                              ;   in Loop: Header=BB4_310 Depth=2
	s_mov_b64 s[20:21], 0
	v_pk_mov_b32 v[18:19], 0, 0
	s_mov_b64 s[22:23], 0
.LBB4_320:                              ;   Parent Loop BB4_3 Depth=1
                                        ;     Parent Loop BB4_310 Depth=2
                                        ; =>    This Inner Loop Header: Depth=3
	s_add_u32 s26, s0, s22
	s_addc_u32 s27, s1, s23
	global_load_ubyte v1, v43, s[26:27]
	s_add_u32 s22, s22, 1
	s_addc_u32 s23, s23, 0
	s_waitcnt vmcnt(0)
	v_and_b32_e32 v42, 0xffff, v1
	v_lshlrev_b64 v[4:5], s20, v[42:43]
	s_add_u32 s20, s20, 8
	s_addc_u32 s21, s21, 0
	v_or_b32_e32 v18, v4, v18
	s_cmp_lg_u32 s24, s22
	v_or_b32_e32 v19, v5, v19
	s_cbranch_scc1 .LBB4_320
	s_branch .LBB4_323
.LBB4_321:                              ;   in Loop: Header=BB4_310 Depth=2
                                        ; implicit-def: $vgpr18_vgpr19
                                        ; implicit-def: $sgpr25
	s_branch .LBB4_324
.LBB4_322:                              ;   in Loop: Header=BB4_310 Depth=2
	v_pk_mov_b32 v[18:19], 0, 0
.LBB4_323:                              ;   in Loop: Header=BB4_310 Depth=2
	s_mov_b32 s25, 0
	s_cbranch_execnz .LBB4_325
.LBB4_324:                              ;   in Loop: Header=BB4_310 Depth=2
	global_load_dwordx2 v[18:19], v43, s[0:1]
	s_add_i32 s25, s24, -8
	s_add_u32 s0, s0, 8
	s_addc_u32 s1, s1, 0
.LBB4_325:                              ;   in Loop: Header=BB4_310 Depth=2
	s_cmp_gt_u32 s25, 7
	s_cbranch_scc1 .LBB4_329
; %bb.326:                              ;   in Loop: Header=BB4_310 Depth=2
	s_cmp_eq_u32 s25, 0
	s_cbranch_scc1 .LBB4_330
; %bb.327:                              ;   in Loop: Header=BB4_310 Depth=2
	s_mov_b64 s[20:21], 0
	v_pk_mov_b32 v[20:21], 0, 0
	s_mov_b64 s[22:23], 0
.LBB4_328:                              ;   Parent Loop BB4_3 Depth=1
                                        ;     Parent Loop BB4_310 Depth=2
                                        ; =>    This Inner Loop Header: Depth=3
	s_add_u32 s26, s0, s22
	s_addc_u32 s27, s1, s23
	global_load_ubyte v1, v43, s[26:27]
	s_add_u32 s22, s22, 1
	s_addc_u32 s23, s23, 0
	s_waitcnt vmcnt(0)
	v_and_b32_e32 v42, 0xffff, v1
	v_lshlrev_b64 v[4:5], s20, v[42:43]
	s_add_u32 s20, s20, 8
	s_addc_u32 s21, s21, 0
	v_or_b32_e32 v20, v4, v20
	s_cmp_lg_u32 s25, s22
	v_or_b32_e32 v21, v5, v21
	s_cbranch_scc1 .LBB4_328
	s_branch .LBB4_331
.LBB4_329:                              ;   in Loop: Header=BB4_310 Depth=2
                                        ; implicit-def: $sgpr24
	s_branch .LBB4_332
.LBB4_330:                              ;   in Loop: Header=BB4_310 Depth=2
	v_pk_mov_b32 v[20:21], 0, 0
.LBB4_331:                              ;   in Loop: Header=BB4_310 Depth=2
	s_mov_b32 s24, 0
	s_cbranch_execnz .LBB4_333
.LBB4_332:                              ;   in Loop: Header=BB4_310 Depth=2
	global_load_dwordx2 v[20:21], v43, s[0:1]
	s_add_i32 s24, s25, -8
	s_add_u32 s0, s0, 8
	s_addc_u32 s1, s1, 0
.LBB4_333:                              ;   in Loop: Header=BB4_310 Depth=2
	s_cmp_gt_u32 s24, 7
	s_cbranch_scc1 .LBB4_337
; %bb.334:                              ;   in Loop: Header=BB4_310 Depth=2
	s_cmp_eq_u32 s24, 0
	s_cbranch_scc1 .LBB4_338
; %bb.335:                              ;   in Loop: Header=BB4_310 Depth=2
	s_mov_b64 s[20:21], 0
	v_pk_mov_b32 v[22:23], 0, 0
	s_mov_b64 s[22:23], 0
.LBB4_336:                              ;   Parent Loop BB4_3 Depth=1
                                        ;     Parent Loop BB4_310 Depth=2
                                        ; =>    This Inner Loop Header: Depth=3
	s_add_u32 s26, s0, s22
	s_addc_u32 s27, s1, s23
	global_load_ubyte v1, v43, s[26:27]
	s_add_u32 s22, s22, 1
	s_addc_u32 s23, s23, 0
	s_waitcnt vmcnt(0)
	v_and_b32_e32 v42, 0xffff, v1
	v_lshlrev_b64 v[4:5], s20, v[42:43]
	s_add_u32 s20, s20, 8
	s_addc_u32 s21, s21, 0
	v_or_b32_e32 v22, v4, v22
	s_cmp_lg_u32 s24, s22
	v_or_b32_e32 v23, v5, v23
	s_cbranch_scc1 .LBB4_336
	s_branch .LBB4_339
.LBB4_337:                              ;   in Loop: Header=BB4_310 Depth=2
                                        ; implicit-def: $vgpr22_vgpr23
                                        ; implicit-def: $sgpr25
	s_branch .LBB4_340
.LBB4_338:                              ;   in Loop: Header=BB4_310 Depth=2
	v_pk_mov_b32 v[22:23], 0, 0
.LBB4_339:                              ;   in Loop: Header=BB4_310 Depth=2
	s_mov_b32 s25, 0
	s_cbranch_execnz .LBB4_341
.LBB4_340:                              ;   in Loop: Header=BB4_310 Depth=2
	global_load_dwordx2 v[22:23], v43, s[0:1]
	s_add_i32 s25, s24, -8
	s_add_u32 s0, s0, 8
	s_addc_u32 s1, s1, 0
.LBB4_341:                              ;   in Loop: Header=BB4_310 Depth=2
	s_cmp_gt_u32 s25, 7
	s_cbranch_scc1 .LBB4_345
; %bb.342:                              ;   in Loop: Header=BB4_310 Depth=2
	s_cmp_eq_u32 s25, 0
	s_cbranch_scc1 .LBB4_346
; %bb.343:                              ;   in Loop: Header=BB4_310 Depth=2
	s_mov_b64 s[20:21], 0
	v_pk_mov_b32 v[24:25], 0, 0
	s_mov_b64 s[22:23], 0
.LBB4_344:                              ;   Parent Loop BB4_3 Depth=1
                                        ;     Parent Loop BB4_310 Depth=2
                                        ; =>    This Inner Loop Header: Depth=3
	s_add_u32 s26, s0, s22
	s_addc_u32 s27, s1, s23
	global_load_ubyte v1, v43, s[26:27]
	s_add_u32 s22, s22, 1
	s_addc_u32 s23, s23, 0
	s_waitcnt vmcnt(0)
	v_and_b32_e32 v42, 0xffff, v1
	v_lshlrev_b64 v[4:5], s20, v[42:43]
	s_add_u32 s20, s20, 8
	s_addc_u32 s21, s21, 0
	v_or_b32_e32 v24, v4, v24
	s_cmp_lg_u32 s25, s22
	v_or_b32_e32 v25, v5, v25
	s_cbranch_scc1 .LBB4_344
	s_branch .LBB4_347
.LBB4_345:                              ;   in Loop: Header=BB4_310 Depth=2
                                        ; implicit-def: $sgpr24
	s_branch .LBB4_348
.LBB4_346:                              ;   in Loop: Header=BB4_310 Depth=2
	v_pk_mov_b32 v[24:25], 0, 0
.LBB4_347:                              ;   in Loop: Header=BB4_310 Depth=2
	s_mov_b32 s24, 0
	s_cbranch_execnz .LBB4_349
.LBB4_348:                              ;   in Loop: Header=BB4_310 Depth=2
	global_load_dwordx2 v[24:25], v43, s[0:1]
	s_add_i32 s24, s25, -8
	s_add_u32 s0, s0, 8
	s_addc_u32 s1, s1, 0
.LBB4_349:                              ;   in Loop: Header=BB4_310 Depth=2
	s_cmp_gt_u32 s24, 7
	s_cbranch_scc1 .LBB4_353
; %bb.350:                              ;   in Loop: Header=BB4_310 Depth=2
	s_cmp_eq_u32 s24, 0
	s_cbranch_scc1 .LBB4_354
; %bb.351:                              ;   in Loop: Header=BB4_310 Depth=2
	s_mov_b64 s[20:21], 0
	v_pk_mov_b32 v[26:27], 0, 0
	s_mov_b64 s[22:23], 0
.LBB4_352:                              ;   Parent Loop BB4_3 Depth=1
                                        ;     Parent Loop BB4_310 Depth=2
                                        ; =>    This Inner Loop Header: Depth=3
	s_add_u32 s26, s0, s22
	s_addc_u32 s27, s1, s23
	global_load_ubyte v1, v43, s[26:27]
	s_add_u32 s22, s22, 1
	s_addc_u32 s23, s23, 0
	s_waitcnt vmcnt(0)
	v_and_b32_e32 v42, 0xffff, v1
	v_lshlrev_b64 v[4:5], s20, v[42:43]
	s_add_u32 s20, s20, 8
	s_addc_u32 s21, s21, 0
	v_or_b32_e32 v26, v4, v26
	s_cmp_lg_u32 s24, s22
	v_or_b32_e32 v27, v5, v27
	s_cbranch_scc1 .LBB4_352
	s_branch .LBB4_355
.LBB4_353:                              ;   in Loop: Header=BB4_310 Depth=2
                                        ; implicit-def: $vgpr26_vgpr27
                                        ; implicit-def: $sgpr25
	s_branch .LBB4_356
.LBB4_354:                              ;   in Loop: Header=BB4_310 Depth=2
	v_pk_mov_b32 v[26:27], 0, 0
.LBB4_355:                              ;   in Loop: Header=BB4_310 Depth=2
	s_mov_b32 s25, 0
	s_cbranch_execnz .LBB4_357
.LBB4_356:                              ;   in Loop: Header=BB4_310 Depth=2
	global_load_dwordx2 v[26:27], v43, s[0:1]
	s_add_i32 s25, s24, -8
	s_add_u32 s0, s0, 8
	s_addc_u32 s1, s1, 0
.LBB4_357:                              ;   in Loop: Header=BB4_310 Depth=2
	s_cmp_gt_u32 s25, 7
	s_cbranch_scc1 .LBB4_361
; %bb.358:                              ;   in Loop: Header=BB4_310 Depth=2
	s_cmp_eq_u32 s25, 0
	s_cbranch_scc1 .LBB4_362
; %bb.359:                              ;   in Loop: Header=BB4_310 Depth=2
	s_mov_b64 s[20:21], 0
	v_pk_mov_b32 v[28:29], 0, 0
	s_mov_b64 s[22:23], s[0:1]
.LBB4_360:                              ;   Parent Loop BB4_3 Depth=1
                                        ;     Parent Loop BB4_310 Depth=2
                                        ; =>    This Inner Loop Header: Depth=3
	global_load_ubyte v1, v43, s[22:23]
	s_add_i32 s25, s25, -1
	s_waitcnt vmcnt(0)
	v_and_b32_e32 v42, 0xffff, v1
	v_lshlrev_b64 v[4:5], s20, v[42:43]
	s_add_u32 s20, s20, 8
	s_addc_u32 s21, s21, 0
	s_add_u32 s22, s22, 1
	s_addc_u32 s23, s23, 0
	v_or_b32_e32 v28, v4, v28
	s_cmp_lg_u32 s25, 0
	v_or_b32_e32 v29, v5, v29
	s_cbranch_scc1 .LBB4_360
	s_branch .LBB4_363
.LBB4_361:                              ;   in Loop: Header=BB4_310 Depth=2
	s_branch .LBB4_364
.LBB4_362:                              ;   in Loop: Header=BB4_310 Depth=2
	v_pk_mov_b32 v[28:29], 0, 0
.LBB4_363:                              ;   in Loop: Header=BB4_310 Depth=2
	s_cbranch_execnz .LBB4_365
.LBB4_364:                              ;   in Loop: Header=BB4_310 Depth=2
	global_load_dwordx2 v[28:29], v43, s[0:1]
.LBB4_365:                              ;   in Loop: Header=BB4_310 Depth=2
	v_readfirstlane_b32 s0, v40
	v_cmp_eq_u32_e64 s[0:1], s0, v40
	v_pk_mov_b32 v[4:5], 0, 0
	s_and_saveexec_b64 s[20:21], s[0:1]
	s_cbranch_execz .LBB4_371
; %bb.366:                              ;   in Loop: Header=BB4_310 Depth=2
	global_load_dwordx2 v[32:33], v43, s[2:3] offset:24 glc
	s_waitcnt vmcnt(0)
	buffer_invl2
	buffer_wbinvl1_vol
	global_load_dwordx2 v[4:5], v43, s[2:3] offset:40
	global_load_dwordx2 v[30:31], v43, s[2:3]
	s_waitcnt vmcnt(1)
	v_and_b32_e32 v1, v4, v32
	v_and_b32_e32 v2, v5, v33
	v_mul_lo_u32 v2, v2, 24
	v_mul_hi_u32 v4, v1, 24
	v_mul_lo_u32 v1, v1, 24
	v_add_u32_e32 v2, v4, v2
	s_waitcnt vmcnt(0)
	v_add_co_u32_e32 v4, vcc, v30, v1
	v_addc_co_u32_e32 v5, vcc, v31, v2, vcc
	global_load_dwordx2 v[30:31], v[4:5], off glc
	s_waitcnt vmcnt(0)
	global_atomic_cmpswap_x2 v[4:5], v43, v[30:33], s[2:3] offset:24 glc
	s_waitcnt vmcnt(0)
	buffer_invl2
	buffer_wbinvl1_vol
	v_cmp_ne_u64_e32 vcc, v[4:5], v[32:33]
	s_and_saveexec_b64 s[22:23], vcc
	s_cbranch_execz .LBB4_370
; %bb.367:                              ;   in Loop: Header=BB4_310 Depth=2
	s_mov_b64 s[24:25], 0
.LBB4_368:                              ;   Parent Loop BB4_3 Depth=1
                                        ;     Parent Loop BB4_310 Depth=2
                                        ; =>    This Inner Loop Header: Depth=3
	s_sleep 1
	global_load_dwordx2 v[30:31], v43, s[2:3] offset:40
	global_load_dwordx2 v[34:35], v43, s[2:3]
	v_pk_mov_b32 v[32:33], v[4:5], v[4:5] op_sel:[0,1]
	s_waitcnt vmcnt(1)
	v_and_b32_e32 v2, v30, v32
	s_waitcnt vmcnt(0)
	v_mad_u64_u32 v[4:5], s[26:27], v2, 24, v[34:35]
	v_and_b32_e32 v1, v31, v33
	v_mov_b32_e32 v2, v5
	v_mad_u64_u32 v[30:31], s[26:27], v1, 24, v[2:3]
	v_mov_b32_e32 v5, v30
	global_load_dwordx2 v[30:31], v[4:5], off glc
	s_waitcnt vmcnt(0)
	global_atomic_cmpswap_x2 v[4:5], v43, v[30:33], s[2:3] offset:24 glc
	s_waitcnt vmcnt(0)
	buffer_invl2
	buffer_wbinvl1_vol
	v_cmp_eq_u64_e32 vcc, v[4:5], v[32:33]
	s_or_b64 s[24:25], vcc, s[24:25]
	s_andn2_b64 exec, exec, s[24:25]
	s_cbranch_execnz .LBB4_368
; %bb.369:                              ;   in Loop: Header=BB4_310 Depth=2
	s_or_b64 exec, exec, s[24:25]
.LBB4_370:                              ;   in Loop: Header=BB4_310 Depth=2
	s_or_b64 exec, exec, s[22:23]
.LBB4_371:                              ;   in Loop: Header=BB4_310 Depth=2
	s_or_b64 exec, exec, s[20:21]
	global_load_dwordx2 v[34:35], v43, s[2:3] offset:40
	global_load_dwordx4 v[30:33], v43, s[2:3]
	v_readfirstlane_b32 s20, v4
	v_readfirstlane_b32 s21, v5
	s_mov_b64 s[22:23], exec
	s_waitcnt vmcnt(1)
	v_readfirstlane_b32 s24, v34
	v_readfirstlane_b32 s25, v35
	s_and_b64 s[24:25], s[20:21], s[24:25]
	s_mul_i32 s26, s25, 24
	s_mul_hi_u32 s27, s24, 24
	s_mul_i32 s33, s24, 24
	s_add_i32 s26, s27, s26
	v_mov_b32_e32 v1, s26
	s_waitcnt vmcnt(0)
	v_add_co_u32_e32 v34, vcc, s33, v30
	v_addc_co_u32_e32 v35, vcc, v31, v1, vcc
	s_and_saveexec_b64 s[26:27], s[0:1]
	s_cbranch_execz .LBB4_373
; %bb.372:                              ;   in Loop: Header=BB4_310 Depth=2
	v_pk_mov_b32 v[4:5], s[22:23], s[22:23] op_sel:[0,1]
	global_store_dwordx4 v[34:35], v[4:7], off offset:8
.LBB4_373:                              ;   in Loop: Header=BB4_310 Depth=2
	s_or_b64 exec, exec, s[26:27]
	s_lshl_b64 s[22:23], s[24:25], 12
	v_mov_b32_e32 v1, s23
	v_add_co_u32_e32 v4, vcc, s22, v32
	v_addc_co_u32_e32 v1, vcc, v33, v1, vcc
	v_or_b32_e32 v2, 0, v13
	v_or_b32_e32 v5, v12, v8
	v_cmp_gt_u64_e64 vcc, s[16:17], 56
	s_lshl_b32 s22, s18, 2
	v_cndmask_b32_e32 v13, v2, v13, vcc
	v_cndmask_b32_e32 v2, v5, v12, vcc
	s_add_i32 s22, s22, 28
	s_and_b32 s22, s22, 0x1e0
	v_and_b32_e32 v2, 0xffffff1f, v2
	v_or_b32_e32 v12, s22, v2
	v_readfirstlane_b32 s22, v4
	v_readfirstlane_b32 s23, v1
	s_nop 4
	global_store_dwordx4 v45, v[12:15], s[22:23]
	global_store_dwordx4 v45, v[18:21], s[22:23] offset:16
	global_store_dwordx4 v45, v[22:25], s[22:23] offset:32
	;; [unrolled: 1-line block ×3, first 2 shown]
	s_and_saveexec_b64 s[22:23], s[0:1]
	s_cbranch_execz .LBB4_381
; %bb.374:                              ;   in Loop: Header=BB4_310 Depth=2
	global_load_dwordx2 v[22:23], v43, s[2:3] offset:32 glc
	global_load_dwordx2 v[12:13], v43, s[2:3] offset:40
	v_mov_b32_e32 v20, s20
	v_mov_b32_e32 v21, s21
	s_waitcnt vmcnt(0)
	v_readfirstlane_b32 s24, v12
	v_readfirstlane_b32 s25, v13
	s_and_b64 s[24:25], s[24:25], s[20:21]
	s_mul_i32 s25, s25, 24
	s_mul_hi_u32 s26, s24, 24
	s_mul_i32 s24, s24, 24
	s_add_i32 s25, s26, s25
	v_mov_b32_e32 v2, s25
	v_add_co_u32_e32 v18, vcc, s24, v30
	v_addc_co_u32_e32 v19, vcc, v31, v2, vcc
	global_store_dwordx2 v[18:19], v[22:23], off
	buffer_wbl2
	s_waitcnt vmcnt(0)
	global_atomic_cmpswap_x2 v[14:15], v43, v[20:23], s[2:3] offset:32 glc
	s_waitcnt vmcnt(0)
	v_cmp_ne_u64_e32 vcc, v[14:15], v[22:23]
	s_and_saveexec_b64 s[24:25], vcc
	s_cbranch_execz .LBB4_377
; %bb.375:                              ;   in Loop: Header=BB4_310 Depth=2
	s_mov_b64 s[26:27], 0
.LBB4_376:                              ;   Parent Loop BB4_3 Depth=1
                                        ;     Parent Loop BB4_310 Depth=2
                                        ; =>    This Inner Loop Header: Depth=3
	s_sleep 1
	global_store_dwordx2 v[18:19], v[14:15], off
	v_mov_b32_e32 v12, s20
	v_mov_b32_e32 v13, s21
	buffer_wbl2
	s_waitcnt vmcnt(0)
	global_atomic_cmpswap_x2 v[12:13], v43, v[12:15], s[2:3] offset:32 glc
	s_waitcnt vmcnt(0)
	v_cmp_eq_u64_e32 vcc, v[12:13], v[14:15]
	s_or_b64 s[26:27], vcc, s[26:27]
	v_pk_mov_b32 v[14:15], v[12:13], v[12:13] op_sel:[0,1]
	s_andn2_b64 exec, exec, s[26:27]
	s_cbranch_execnz .LBB4_376
.LBB4_377:                              ;   in Loop: Header=BB4_310 Depth=2
	s_or_b64 exec, exec, s[24:25]
	global_load_dwordx2 v[12:13], v43, s[2:3] offset:16
	s_mov_b64 s[26:27], exec
	v_mbcnt_lo_u32_b32 v2, s26, 0
	v_mbcnt_hi_u32_b32 v2, s27, v2
	v_cmp_eq_u32_e32 vcc, 0, v2
	s_and_saveexec_b64 s[24:25], vcc
	s_cbranch_execz .LBB4_379
; %bb.378:                              ;   in Loop: Header=BB4_310 Depth=2
	s_bcnt1_i32_b64 s26, s[26:27]
	v_mov_b32_e32 v2, s26
	buffer_wbl2
	s_waitcnt vmcnt(0)
	global_atomic_add_x2 v[12:13], v[2:3], off offset:8
.LBB4_379:                              ;   in Loop: Header=BB4_310 Depth=2
	s_or_b64 exec, exec, s[24:25]
	s_waitcnt vmcnt(0)
	global_load_dwordx2 v[14:15], v[12:13], off offset:16
	s_waitcnt vmcnt(0)
	v_cmp_eq_u64_e32 vcc, 0, v[14:15]
	s_cbranch_vccnz .LBB4_381
; %bb.380:                              ;   in Loop: Header=BB4_310 Depth=2
	global_load_dword v42, v[12:13], off offset:24
	s_waitcnt vmcnt(0)
	v_and_b32_e32 v2, 0xffffff, v42
	v_readfirstlane_b32 m0, v2
	buffer_wbl2
	global_store_dwordx2 v[14:15], v[42:43], off
	s_sendmsg sendmsg(MSG_INTERRUPT)
.LBB4_381:                              ;   in Loop: Header=BB4_310 Depth=2
	s_or_b64 exec, exec, s[22:23]
	v_add_co_u32_e32 v4, vcc, v4, v45
	v_addc_co_u32_e32 v5, vcc, 0, v1, vcc
	s_branch .LBB4_385
.LBB4_382:                              ;   in Loop: Header=BB4_385 Depth=3
	s_or_b64 exec, exec, s[22:23]
	v_readfirstlane_b32 s22, v1
	s_cmp_eq_u32 s22, 0
	s_cbranch_scc1 .LBB4_384
; %bb.383:                              ;   in Loop: Header=BB4_385 Depth=3
	s_sleep 1
	s_cbranch_execnz .LBB4_385
	s_branch .LBB4_387
.LBB4_384:                              ;   in Loop: Header=BB4_310 Depth=2
	s_branch .LBB4_387
.LBB4_385:                              ;   Parent Loop BB4_3 Depth=1
                                        ;     Parent Loop BB4_310 Depth=2
                                        ; =>    This Inner Loop Header: Depth=3
	v_mov_b32_e32 v1, 1
	s_and_saveexec_b64 s[22:23], s[0:1]
	s_cbranch_execz .LBB4_382
; %bb.386:                              ;   in Loop: Header=BB4_385 Depth=3
	global_load_dword v1, v[34:35], off offset:20 glc
	s_waitcnt vmcnt(0)
	buffer_invl2
	buffer_wbinvl1_vol
	v_and_b32_e32 v1, 1, v1
	s_branch .LBB4_382
.LBB4_387:                              ;   in Loop: Header=BB4_310 Depth=2
	global_load_dwordx4 v[12:15], v[4:5], off
	s_and_saveexec_b64 s[22:23], s[0:1]
	s_cbranch_execz .LBB4_309
; %bb.388:                              ;   in Loop: Header=BB4_310 Depth=2
	global_load_dwordx2 v[4:5], v43, s[2:3] offset:40
	global_load_dwordx2 v[14:15], v43, s[2:3] offset:24 glc
	global_load_dwordx2 v[22:23], v43, s[2:3]
	v_mov_b32_e32 v1, s21
	s_waitcnt vmcnt(2)
	v_add_co_u32_e32 v2, vcc, 1, v4
	v_addc_co_u32_e32 v9, vcc, 0, v5, vcc
	v_add_co_u32_e32 v18, vcc, s20, v2
	v_addc_co_u32_e32 v19, vcc, v9, v1, vcc
	v_cmp_eq_u64_e32 vcc, 0, v[18:19]
	v_cndmask_b32_e32 v19, v19, v9, vcc
	v_cndmask_b32_e32 v18, v18, v2, vcc
	v_and_b32_e32 v1, v19, v5
	v_and_b32_e32 v2, v18, v4
	v_mul_lo_u32 v1, v1, 24
	v_mul_hi_u32 v4, v2, 24
	v_mul_lo_u32 v2, v2, 24
	v_add_u32_e32 v1, v4, v1
	s_waitcnt vmcnt(0)
	v_add_co_u32_e32 v4, vcc, v22, v2
	v_addc_co_u32_e32 v5, vcc, v23, v1, vcc
	v_mov_b32_e32 v20, v14
	global_store_dwordx2 v[4:5], v[14:15], off
	v_mov_b32_e32 v21, v15
	buffer_wbl2
	s_waitcnt vmcnt(0)
	global_atomic_cmpswap_x2 v[20:21], v43, v[18:21], s[2:3] offset:24 glc
	s_waitcnt vmcnt(0)
	v_cmp_ne_u64_e32 vcc, v[20:21], v[14:15]
	s_and_b64 exec, exec, vcc
	s_cbranch_execz .LBB4_309
; %bb.389:                              ;   in Loop: Header=BB4_310 Depth=2
	s_mov_b64 s[0:1], 0
.LBB4_390:                              ;   Parent Loop BB4_3 Depth=1
                                        ;     Parent Loop BB4_310 Depth=2
                                        ; =>    This Inner Loop Header: Depth=3
	s_sleep 1
	global_store_dwordx2 v[4:5], v[20:21], off
	buffer_wbl2
	s_waitcnt vmcnt(0)
	global_atomic_cmpswap_x2 v[14:15], v43, v[18:21], s[2:3] offset:24 glc
	s_waitcnt vmcnt(0)
	v_cmp_eq_u64_e32 vcc, v[14:15], v[20:21]
	s_or_b64 s[0:1], vcc, s[0:1]
	v_pk_mov_b32 v[20:21], v[14:15], v[14:15] op_sel:[0,1]
	s_andn2_b64 exec, exec, s[0:1]
	s_cbranch_execnz .LBB4_390
	s_branch .LBB4_309
.LBB4_391:                              ;   in Loop: Header=BB4_3 Depth=1
.LBB4_392:                              ;   in Loop: Header=BB4_3 Depth=1
	s_and_b64 vcc, exec, s[12:13]
	s_cbranch_vccz .LBB4_505
.LBB4_393:                              ;   in Loop: Header=BB4_3 Depth=1
	s_waitcnt vmcnt(0)
	v_and_b32_e32 v8, 2, v12
	v_and_b32_e32 v14, -3, v12
	v_mov_b32_e32 v15, v13
	s_mov_b64 s[16:17], 45
	s_getpc_b64 s[14:15]
	s_add_u32 s14, s14, .str.6@rel32@lo+4
	s_addc_u32 s15, s15, .str.6@rel32@hi+12
	s_branch .LBB4_395
.LBB4_394:                              ;   in Loop: Header=BB4_395 Depth=2
	s_or_b64 exec, exec, s[22:23]
	s_sub_u32 s16, s16, s18
	s_subb_u32 s17, s17, s19
	s_add_u32 s14, s14, s18
	s_addc_u32 s15, s15, s19
	s_cmp_lg_u64 s[16:17], 0
	s_cbranch_scc0 .LBB4_476
.LBB4_395:                              ;   Parent Loop BB4_3 Depth=1
                                        ; =>  This Loop Header: Depth=2
                                        ;       Child Loop BB4_398 Depth 3
                                        ;       Child Loop BB4_405 Depth 3
	;; [unrolled: 1-line block ×11, first 2 shown]
	v_cmp_lt_u64_e64 s[0:1], s[16:17], 56
	s_and_b64 s[0:1], s[0:1], exec
	v_cmp_gt_u64_e64 s[0:1], s[16:17], 7
	s_cselect_b32 s19, s17, 0
	s_cselect_b32 s18, s16, 56
	s_and_b64 vcc, exec, s[0:1]
	s_cbranch_vccnz .LBB4_400
; %bb.396:                              ;   in Loop: Header=BB4_395 Depth=2
	s_mov_b64 s[0:1], 0
	s_cmp_eq_u64 s[16:17], 0
	s_waitcnt vmcnt(0)
	v_pk_mov_b32 v[16:17], 0, 0
	s_cbranch_scc1 .LBB4_399
; %bb.397:                              ;   in Loop: Header=BB4_395 Depth=2
	s_lshl_b64 s[20:21], s[18:19], 3
	s_mov_b64 s[22:23], 0
	v_pk_mov_b32 v[16:17], 0, 0
	s_mov_b64 s[24:25], s[14:15]
.LBB4_398:                              ;   Parent Loop BB4_3 Depth=1
                                        ;     Parent Loop BB4_395 Depth=2
                                        ; =>    This Inner Loop Header: Depth=3
	global_load_ubyte v1, v43, s[24:25]
	s_waitcnt vmcnt(0)
	v_and_b32_e32 v42, 0xffff, v1
	v_lshlrev_b64 v[4:5], s22, v[42:43]
	s_add_u32 s22, s22, 8
	s_addc_u32 s23, s23, 0
	s_add_u32 s24, s24, 1
	s_addc_u32 s25, s25, 0
	v_or_b32_e32 v16, v4, v16
	s_cmp_lg_u32 s20, s22
	v_or_b32_e32 v17, v5, v17
	s_cbranch_scc1 .LBB4_398
.LBB4_399:                              ;   in Loop: Header=BB4_395 Depth=2
	s_mov_b32 s24, 0
	s_andn2_b64 vcc, exec, s[0:1]
	s_mov_b64 s[0:1], s[14:15]
	s_cbranch_vccz .LBB4_401
	s_branch .LBB4_402
.LBB4_400:                              ;   in Loop: Header=BB4_395 Depth=2
                                        ; implicit-def: $vgpr16_vgpr17
                                        ; implicit-def: $sgpr24
	s_mov_b64 s[0:1], s[14:15]
.LBB4_401:                              ;   in Loop: Header=BB4_395 Depth=2
	global_load_dwordx2 v[16:17], v43, s[14:15]
	s_add_i32 s24, s18, -8
	s_add_u32 s0, s14, 8
	s_addc_u32 s1, s15, 0
.LBB4_402:                              ;   in Loop: Header=BB4_395 Depth=2
	s_cmp_gt_u32 s24, 7
	s_cbranch_scc1 .LBB4_406
; %bb.403:                              ;   in Loop: Header=BB4_395 Depth=2
	s_cmp_eq_u32 s24, 0
	s_cbranch_scc1 .LBB4_407
; %bb.404:                              ;   in Loop: Header=BB4_395 Depth=2
	s_mov_b64 s[20:21], 0
	v_pk_mov_b32 v[18:19], 0, 0
	s_mov_b64 s[22:23], 0
.LBB4_405:                              ;   Parent Loop BB4_3 Depth=1
                                        ;     Parent Loop BB4_395 Depth=2
                                        ; =>    This Inner Loop Header: Depth=3
	s_add_u32 s26, s0, s22
	s_addc_u32 s27, s1, s23
	global_load_ubyte v1, v43, s[26:27]
	s_add_u32 s22, s22, 1
	s_addc_u32 s23, s23, 0
	s_waitcnt vmcnt(0)
	v_and_b32_e32 v42, 0xffff, v1
	v_lshlrev_b64 v[4:5], s20, v[42:43]
	s_add_u32 s20, s20, 8
	s_addc_u32 s21, s21, 0
	v_or_b32_e32 v18, v4, v18
	s_cmp_lg_u32 s24, s22
	v_or_b32_e32 v19, v5, v19
	s_cbranch_scc1 .LBB4_405
	s_branch .LBB4_408
.LBB4_406:                              ;   in Loop: Header=BB4_395 Depth=2
                                        ; implicit-def: $vgpr18_vgpr19
                                        ; implicit-def: $sgpr25
	s_branch .LBB4_409
.LBB4_407:                              ;   in Loop: Header=BB4_395 Depth=2
	v_pk_mov_b32 v[18:19], 0, 0
.LBB4_408:                              ;   in Loop: Header=BB4_395 Depth=2
	s_mov_b32 s25, 0
	s_cbranch_execnz .LBB4_410
.LBB4_409:                              ;   in Loop: Header=BB4_395 Depth=2
	global_load_dwordx2 v[18:19], v43, s[0:1]
	s_add_i32 s25, s24, -8
	s_add_u32 s0, s0, 8
	s_addc_u32 s1, s1, 0
.LBB4_410:                              ;   in Loop: Header=BB4_395 Depth=2
	s_cmp_gt_u32 s25, 7
	s_cbranch_scc1 .LBB4_414
; %bb.411:                              ;   in Loop: Header=BB4_395 Depth=2
	s_cmp_eq_u32 s25, 0
	s_cbranch_scc1 .LBB4_415
; %bb.412:                              ;   in Loop: Header=BB4_395 Depth=2
	s_mov_b64 s[20:21], 0
	v_pk_mov_b32 v[20:21], 0, 0
	s_mov_b64 s[22:23], 0
.LBB4_413:                              ;   Parent Loop BB4_3 Depth=1
                                        ;     Parent Loop BB4_395 Depth=2
                                        ; =>    This Inner Loop Header: Depth=3
	s_add_u32 s26, s0, s22
	s_addc_u32 s27, s1, s23
	global_load_ubyte v1, v43, s[26:27]
	s_add_u32 s22, s22, 1
	s_addc_u32 s23, s23, 0
	s_waitcnt vmcnt(0)
	v_and_b32_e32 v42, 0xffff, v1
	v_lshlrev_b64 v[4:5], s20, v[42:43]
	s_add_u32 s20, s20, 8
	s_addc_u32 s21, s21, 0
	v_or_b32_e32 v20, v4, v20
	s_cmp_lg_u32 s25, s22
	v_or_b32_e32 v21, v5, v21
	s_cbranch_scc1 .LBB4_413
	s_branch .LBB4_416
.LBB4_414:                              ;   in Loop: Header=BB4_395 Depth=2
                                        ; implicit-def: $sgpr24
	s_branch .LBB4_417
.LBB4_415:                              ;   in Loop: Header=BB4_395 Depth=2
	v_pk_mov_b32 v[20:21], 0, 0
.LBB4_416:                              ;   in Loop: Header=BB4_395 Depth=2
	s_mov_b32 s24, 0
	s_cbranch_execnz .LBB4_418
.LBB4_417:                              ;   in Loop: Header=BB4_395 Depth=2
	global_load_dwordx2 v[20:21], v43, s[0:1]
	s_add_i32 s24, s25, -8
	s_add_u32 s0, s0, 8
	s_addc_u32 s1, s1, 0
.LBB4_418:                              ;   in Loop: Header=BB4_395 Depth=2
	s_cmp_gt_u32 s24, 7
	s_cbranch_scc1 .LBB4_422
; %bb.419:                              ;   in Loop: Header=BB4_395 Depth=2
	s_cmp_eq_u32 s24, 0
	s_cbranch_scc1 .LBB4_423
; %bb.420:                              ;   in Loop: Header=BB4_395 Depth=2
	s_mov_b64 s[20:21], 0
	v_pk_mov_b32 v[22:23], 0, 0
	s_mov_b64 s[22:23], 0
.LBB4_421:                              ;   Parent Loop BB4_3 Depth=1
                                        ;     Parent Loop BB4_395 Depth=2
                                        ; =>    This Inner Loop Header: Depth=3
	s_add_u32 s26, s0, s22
	s_addc_u32 s27, s1, s23
	global_load_ubyte v1, v43, s[26:27]
	s_add_u32 s22, s22, 1
	s_addc_u32 s23, s23, 0
	s_waitcnt vmcnt(0)
	v_and_b32_e32 v42, 0xffff, v1
	v_lshlrev_b64 v[4:5], s20, v[42:43]
	s_add_u32 s20, s20, 8
	s_addc_u32 s21, s21, 0
	v_or_b32_e32 v22, v4, v22
	s_cmp_lg_u32 s24, s22
	v_or_b32_e32 v23, v5, v23
	s_cbranch_scc1 .LBB4_421
	s_branch .LBB4_424
.LBB4_422:                              ;   in Loop: Header=BB4_395 Depth=2
                                        ; implicit-def: $vgpr22_vgpr23
                                        ; implicit-def: $sgpr25
	s_branch .LBB4_425
.LBB4_423:                              ;   in Loop: Header=BB4_395 Depth=2
	v_pk_mov_b32 v[22:23], 0, 0
.LBB4_424:                              ;   in Loop: Header=BB4_395 Depth=2
	s_mov_b32 s25, 0
	s_cbranch_execnz .LBB4_426
.LBB4_425:                              ;   in Loop: Header=BB4_395 Depth=2
	global_load_dwordx2 v[22:23], v43, s[0:1]
	s_add_i32 s25, s24, -8
	s_add_u32 s0, s0, 8
	s_addc_u32 s1, s1, 0
.LBB4_426:                              ;   in Loop: Header=BB4_395 Depth=2
	s_cmp_gt_u32 s25, 7
	s_cbranch_scc1 .LBB4_430
; %bb.427:                              ;   in Loop: Header=BB4_395 Depth=2
	s_cmp_eq_u32 s25, 0
	s_cbranch_scc1 .LBB4_431
; %bb.428:                              ;   in Loop: Header=BB4_395 Depth=2
	s_mov_b64 s[20:21], 0
	v_pk_mov_b32 v[24:25], 0, 0
	s_mov_b64 s[22:23], 0
.LBB4_429:                              ;   Parent Loop BB4_3 Depth=1
                                        ;     Parent Loop BB4_395 Depth=2
                                        ; =>    This Inner Loop Header: Depth=3
	s_add_u32 s26, s0, s22
	s_addc_u32 s27, s1, s23
	global_load_ubyte v1, v43, s[26:27]
	s_add_u32 s22, s22, 1
	s_addc_u32 s23, s23, 0
	s_waitcnt vmcnt(0)
	v_and_b32_e32 v42, 0xffff, v1
	v_lshlrev_b64 v[4:5], s20, v[42:43]
	s_add_u32 s20, s20, 8
	s_addc_u32 s21, s21, 0
	v_or_b32_e32 v24, v4, v24
	s_cmp_lg_u32 s25, s22
	v_or_b32_e32 v25, v5, v25
	s_cbranch_scc1 .LBB4_429
	s_branch .LBB4_432
.LBB4_430:                              ;   in Loop: Header=BB4_395 Depth=2
                                        ; implicit-def: $sgpr24
	s_branch .LBB4_433
.LBB4_431:                              ;   in Loop: Header=BB4_395 Depth=2
	v_pk_mov_b32 v[24:25], 0, 0
.LBB4_432:                              ;   in Loop: Header=BB4_395 Depth=2
	s_mov_b32 s24, 0
	s_cbranch_execnz .LBB4_434
.LBB4_433:                              ;   in Loop: Header=BB4_395 Depth=2
	global_load_dwordx2 v[24:25], v43, s[0:1]
	s_add_i32 s24, s25, -8
	s_add_u32 s0, s0, 8
	s_addc_u32 s1, s1, 0
.LBB4_434:                              ;   in Loop: Header=BB4_395 Depth=2
	s_cmp_gt_u32 s24, 7
	s_cbranch_scc1 .LBB4_438
; %bb.435:                              ;   in Loop: Header=BB4_395 Depth=2
	s_cmp_eq_u32 s24, 0
	s_cbranch_scc1 .LBB4_439
; %bb.436:                              ;   in Loop: Header=BB4_395 Depth=2
	s_mov_b64 s[20:21], 0
	v_pk_mov_b32 v[26:27], 0, 0
	s_mov_b64 s[22:23], 0
.LBB4_437:                              ;   Parent Loop BB4_3 Depth=1
                                        ;     Parent Loop BB4_395 Depth=2
                                        ; =>    This Inner Loop Header: Depth=3
	s_add_u32 s26, s0, s22
	s_addc_u32 s27, s1, s23
	global_load_ubyte v1, v43, s[26:27]
	s_add_u32 s22, s22, 1
	s_addc_u32 s23, s23, 0
	s_waitcnt vmcnt(0)
	v_and_b32_e32 v42, 0xffff, v1
	v_lshlrev_b64 v[4:5], s20, v[42:43]
	s_add_u32 s20, s20, 8
	s_addc_u32 s21, s21, 0
	v_or_b32_e32 v26, v4, v26
	s_cmp_lg_u32 s24, s22
	v_or_b32_e32 v27, v5, v27
	s_cbranch_scc1 .LBB4_437
	s_branch .LBB4_440
.LBB4_438:                              ;   in Loop: Header=BB4_395 Depth=2
                                        ; implicit-def: $vgpr26_vgpr27
                                        ; implicit-def: $sgpr25
	s_branch .LBB4_441
.LBB4_439:                              ;   in Loop: Header=BB4_395 Depth=2
	v_pk_mov_b32 v[26:27], 0, 0
.LBB4_440:                              ;   in Loop: Header=BB4_395 Depth=2
	s_mov_b32 s25, 0
	s_cbranch_execnz .LBB4_442
.LBB4_441:                              ;   in Loop: Header=BB4_395 Depth=2
	global_load_dwordx2 v[26:27], v43, s[0:1]
	s_add_i32 s25, s24, -8
	s_add_u32 s0, s0, 8
	s_addc_u32 s1, s1, 0
.LBB4_442:                              ;   in Loop: Header=BB4_395 Depth=2
	s_cmp_gt_u32 s25, 7
	s_cbranch_scc1 .LBB4_446
; %bb.443:                              ;   in Loop: Header=BB4_395 Depth=2
	s_cmp_eq_u32 s25, 0
	s_cbranch_scc1 .LBB4_447
; %bb.444:                              ;   in Loop: Header=BB4_395 Depth=2
	s_mov_b64 s[20:21], 0
	v_pk_mov_b32 v[28:29], 0, 0
	s_mov_b64 s[22:23], s[0:1]
.LBB4_445:                              ;   Parent Loop BB4_3 Depth=1
                                        ;     Parent Loop BB4_395 Depth=2
                                        ; =>    This Inner Loop Header: Depth=3
	global_load_ubyte v1, v43, s[22:23]
	s_add_i32 s25, s25, -1
	s_waitcnt vmcnt(0)
	v_and_b32_e32 v42, 0xffff, v1
	v_lshlrev_b64 v[4:5], s20, v[42:43]
	s_add_u32 s20, s20, 8
	s_addc_u32 s21, s21, 0
	s_add_u32 s22, s22, 1
	s_addc_u32 s23, s23, 0
	v_or_b32_e32 v28, v4, v28
	s_cmp_lg_u32 s25, 0
	v_or_b32_e32 v29, v5, v29
	s_cbranch_scc1 .LBB4_445
	s_branch .LBB4_448
.LBB4_446:                              ;   in Loop: Header=BB4_395 Depth=2
	s_branch .LBB4_449
.LBB4_447:                              ;   in Loop: Header=BB4_395 Depth=2
	v_pk_mov_b32 v[28:29], 0, 0
.LBB4_448:                              ;   in Loop: Header=BB4_395 Depth=2
	s_cbranch_execnz .LBB4_450
.LBB4_449:                              ;   in Loop: Header=BB4_395 Depth=2
	global_load_dwordx2 v[28:29], v43, s[0:1]
.LBB4_450:                              ;   in Loop: Header=BB4_395 Depth=2
	v_readfirstlane_b32 s0, v40
	v_cmp_eq_u32_e64 s[0:1], s0, v40
	v_pk_mov_b32 v[4:5], 0, 0
	s_and_saveexec_b64 s[20:21], s[0:1]
	s_cbranch_execz .LBB4_456
; %bb.451:                              ;   in Loop: Header=BB4_395 Depth=2
	global_load_dwordx2 v[32:33], v43, s[2:3] offset:24 glc
	s_waitcnt vmcnt(0)
	buffer_invl2
	buffer_wbinvl1_vol
	global_load_dwordx2 v[4:5], v43, s[2:3] offset:40
	global_load_dwordx2 v[30:31], v43, s[2:3]
	s_waitcnt vmcnt(1)
	v_and_b32_e32 v1, v4, v32
	v_and_b32_e32 v2, v5, v33
	v_mul_lo_u32 v2, v2, 24
	v_mul_hi_u32 v4, v1, 24
	v_mul_lo_u32 v1, v1, 24
	v_add_u32_e32 v2, v4, v2
	s_waitcnt vmcnt(0)
	v_add_co_u32_e32 v4, vcc, v30, v1
	v_addc_co_u32_e32 v5, vcc, v31, v2, vcc
	global_load_dwordx2 v[30:31], v[4:5], off glc
	s_waitcnt vmcnt(0)
	global_atomic_cmpswap_x2 v[4:5], v43, v[30:33], s[2:3] offset:24 glc
	s_waitcnt vmcnt(0)
	buffer_invl2
	buffer_wbinvl1_vol
	v_cmp_ne_u64_e32 vcc, v[4:5], v[32:33]
	s_and_saveexec_b64 s[22:23], vcc
	s_cbranch_execz .LBB4_455
; %bb.452:                              ;   in Loop: Header=BB4_395 Depth=2
	s_mov_b64 s[24:25], 0
.LBB4_453:                              ;   Parent Loop BB4_3 Depth=1
                                        ;     Parent Loop BB4_395 Depth=2
                                        ; =>    This Inner Loop Header: Depth=3
	s_sleep 1
	global_load_dwordx2 v[30:31], v43, s[2:3] offset:40
	global_load_dwordx2 v[34:35], v43, s[2:3]
	v_pk_mov_b32 v[32:33], v[4:5], v[4:5] op_sel:[0,1]
	s_waitcnt vmcnt(1)
	v_and_b32_e32 v2, v30, v32
	s_waitcnt vmcnt(0)
	v_mad_u64_u32 v[4:5], s[26:27], v2, 24, v[34:35]
	v_and_b32_e32 v1, v31, v33
	v_mov_b32_e32 v2, v5
	v_mad_u64_u32 v[30:31], s[26:27], v1, 24, v[2:3]
	v_mov_b32_e32 v5, v30
	global_load_dwordx2 v[30:31], v[4:5], off glc
	s_waitcnt vmcnt(0)
	global_atomic_cmpswap_x2 v[4:5], v43, v[30:33], s[2:3] offset:24 glc
	s_waitcnt vmcnt(0)
	buffer_invl2
	buffer_wbinvl1_vol
	v_cmp_eq_u64_e32 vcc, v[4:5], v[32:33]
	s_or_b64 s[24:25], vcc, s[24:25]
	s_andn2_b64 exec, exec, s[24:25]
	s_cbranch_execnz .LBB4_453
; %bb.454:                              ;   in Loop: Header=BB4_395 Depth=2
	s_or_b64 exec, exec, s[24:25]
.LBB4_455:                              ;   in Loop: Header=BB4_395 Depth=2
	s_or_b64 exec, exec, s[22:23]
.LBB4_456:                              ;   in Loop: Header=BB4_395 Depth=2
	s_or_b64 exec, exec, s[20:21]
	global_load_dwordx2 v[34:35], v43, s[2:3] offset:40
	global_load_dwordx4 v[30:33], v43, s[2:3]
	v_readfirstlane_b32 s20, v4
	v_readfirstlane_b32 s21, v5
	s_mov_b64 s[22:23], exec
	s_waitcnt vmcnt(1)
	v_readfirstlane_b32 s24, v34
	v_readfirstlane_b32 s25, v35
	s_and_b64 s[24:25], s[20:21], s[24:25]
	s_mul_i32 s26, s25, 24
	s_mul_hi_u32 s27, s24, 24
	s_mul_i32 s33, s24, 24
	s_add_i32 s26, s27, s26
	v_mov_b32_e32 v1, s26
	s_waitcnt vmcnt(0)
	v_add_co_u32_e32 v34, vcc, s33, v30
	v_addc_co_u32_e32 v35, vcc, v31, v1, vcc
	s_and_saveexec_b64 s[26:27], s[0:1]
	s_cbranch_execz .LBB4_458
; %bb.457:                              ;   in Loop: Header=BB4_395 Depth=2
	v_pk_mov_b32 v[4:5], s[22:23], s[22:23] op_sel:[0,1]
	global_store_dwordx4 v[34:35], v[4:7], off offset:8
.LBB4_458:                              ;   in Loop: Header=BB4_395 Depth=2
	s_or_b64 exec, exec, s[26:27]
	s_lshl_b64 s[22:23], s[24:25], 12
	v_mov_b32_e32 v1, s23
	v_add_co_u32_e32 v4, vcc, s22, v32
	v_addc_co_u32_e32 v1, vcc, v33, v1, vcc
	v_or_b32_e32 v2, 0, v15
	v_or_b32_e32 v5, v14, v8
	v_cmp_gt_u64_e64 vcc, s[16:17], 56
	s_lshl_b32 s22, s18, 2
	v_cndmask_b32_e32 v15, v2, v15, vcc
	v_cndmask_b32_e32 v2, v5, v14, vcc
	s_add_i32 s22, s22, 28
	s_and_b32 s22, s22, 0x1e0
	v_and_b32_e32 v2, 0xffffff1f, v2
	v_or_b32_e32 v14, s22, v2
	v_readfirstlane_b32 s22, v4
	v_readfirstlane_b32 s23, v1
	s_nop 4
	global_store_dwordx4 v45, v[14:17], s[22:23]
	global_store_dwordx4 v45, v[18:21], s[22:23] offset:16
	global_store_dwordx4 v45, v[22:25], s[22:23] offset:32
	;; [unrolled: 1-line block ×3, first 2 shown]
	s_and_saveexec_b64 s[22:23], s[0:1]
	s_cbranch_execz .LBB4_466
; %bb.459:                              ;   in Loop: Header=BB4_395 Depth=2
	global_load_dwordx2 v[22:23], v43, s[2:3] offset:32 glc
	global_load_dwordx2 v[14:15], v43, s[2:3] offset:40
	v_mov_b32_e32 v20, s20
	v_mov_b32_e32 v21, s21
	s_waitcnt vmcnt(0)
	v_readfirstlane_b32 s24, v14
	v_readfirstlane_b32 s25, v15
	s_and_b64 s[24:25], s[24:25], s[20:21]
	s_mul_i32 s25, s25, 24
	s_mul_hi_u32 s26, s24, 24
	s_mul_i32 s24, s24, 24
	s_add_i32 s25, s26, s25
	v_mov_b32_e32 v2, s25
	v_add_co_u32_e32 v18, vcc, s24, v30
	v_addc_co_u32_e32 v19, vcc, v31, v2, vcc
	global_store_dwordx2 v[18:19], v[22:23], off
	buffer_wbl2
	s_waitcnt vmcnt(0)
	global_atomic_cmpswap_x2 v[16:17], v43, v[20:23], s[2:3] offset:32 glc
	s_waitcnt vmcnt(0)
	v_cmp_ne_u64_e32 vcc, v[16:17], v[22:23]
	s_and_saveexec_b64 s[24:25], vcc
	s_cbranch_execz .LBB4_462
; %bb.460:                              ;   in Loop: Header=BB4_395 Depth=2
	s_mov_b64 s[26:27], 0
.LBB4_461:                              ;   Parent Loop BB4_3 Depth=1
                                        ;     Parent Loop BB4_395 Depth=2
                                        ; =>    This Inner Loop Header: Depth=3
	s_sleep 1
	global_store_dwordx2 v[18:19], v[16:17], off
	v_mov_b32_e32 v14, s20
	v_mov_b32_e32 v15, s21
	buffer_wbl2
	s_waitcnt vmcnt(0)
	global_atomic_cmpswap_x2 v[14:15], v43, v[14:17], s[2:3] offset:32 glc
	s_waitcnt vmcnt(0)
	v_cmp_eq_u64_e32 vcc, v[14:15], v[16:17]
	s_or_b64 s[26:27], vcc, s[26:27]
	v_pk_mov_b32 v[16:17], v[14:15], v[14:15] op_sel:[0,1]
	s_andn2_b64 exec, exec, s[26:27]
	s_cbranch_execnz .LBB4_461
.LBB4_462:                              ;   in Loop: Header=BB4_395 Depth=2
	s_or_b64 exec, exec, s[24:25]
	global_load_dwordx2 v[14:15], v43, s[2:3] offset:16
	s_mov_b64 s[26:27], exec
	v_mbcnt_lo_u32_b32 v2, s26, 0
	v_mbcnt_hi_u32_b32 v2, s27, v2
	v_cmp_eq_u32_e32 vcc, 0, v2
	s_and_saveexec_b64 s[24:25], vcc
	s_cbranch_execz .LBB4_464
; %bb.463:                              ;   in Loop: Header=BB4_395 Depth=2
	s_bcnt1_i32_b64 s26, s[26:27]
	v_mov_b32_e32 v2, s26
	buffer_wbl2
	s_waitcnt vmcnt(0)
	global_atomic_add_x2 v[14:15], v[2:3], off offset:8
.LBB4_464:                              ;   in Loop: Header=BB4_395 Depth=2
	s_or_b64 exec, exec, s[24:25]
	s_waitcnt vmcnt(0)
	global_load_dwordx2 v[16:17], v[14:15], off offset:16
	s_waitcnt vmcnt(0)
	v_cmp_eq_u64_e32 vcc, 0, v[16:17]
	s_cbranch_vccnz .LBB4_466
; %bb.465:                              ;   in Loop: Header=BB4_395 Depth=2
	global_load_dword v42, v[14:15], off offset:24
	s_waitcnt vmcnt(0)
	v_and_b32_e32 v2, 0xffffff, v42
	v_readfirstlane_b32 m0, v2
	buffer_wbl2
	global_store_dwordx2 v[16:17], v[42:43], off
	s_sendmsg sendmsg(MSG_INTERRUPT)
.LBB4_466:                              ;   in Loop: Header=BB4_395 Depth=2
	s_or_b64 exec, exec, s[22:23]
	v_add_co_u32_e32 v4, vcc, v4, v45
	v_addc_co_u32_e32 v5, vcc, 0, v1, vcc
	s_branch .LBB4_470
.LBB4_467:                              ;   in Loop: Header=BB4_470 Depth=3
	s_or_b64 exec, exec, s[22:23]
	v_readfirstlane_b32 s22, v1
	s_cmp_eq_u32 s22, 0
	s_cbranch_scc1 .LBB4_469
; %bb.468:                              ;   in Loop: Header=BB4_470 Depth=3
	s_sleep 1
	s_cbranch_execnz .LBB4_470
	s_branch .LBB4_472
.LBB4_469:                              ;   in Loop: Header=BB4_395 Depth=2
	s_branch .LBB4_472
.LBB4_470:                              ;   Parent Loop BB4_3 Depth=1
                                        ;     Parent Loop BB4_395 Depth=2
                                        ; =>    This Inner Loop Header: Depth=3
	v_mov_b32_e32 v1, 1
	s_and_saveexec_b64 s[22:23], s[0:1]
	s_cbranch_execz .LBB4_467
; %bb.471:                              ;   in Loop: Header=BB4_470 Depth=3
	global_load_dword v1, v[34:35], off offset:20 glc
	s_waitcnt vmcnt(0)
	buffer_invl2
	buffer_wbinvl1_vol
	v_and_b32_e32 v1, 1, v1
	s_branch .LBB4_467
.LBB4_472:                              ;   in Loop: Header=BB4_395 Depth=2
	global_load_dwordx4 v[14:17], v[4:5], off
	s_and_saveexec_b64 s[22:23], s[0:1]
	s_cbranch_execz .LBB4_394
; %bb.473:                              ;   in Loop: Header=BB4_395 Depth=2
	global_load_dwordx2 v[4:5], v43, s[2:3] offset:40
	global_load_dwordx2 v[20:21], v43, s[2:3] offset:24 glc
	global_load_dwordx2 v[22:23], v43, s[2:3]
	v_mov_b32_e32 v1, s21
	s_waitcnt vmcnt(2)
	v_add_co_u32_e32 v2, vcc, 1, v4
	v_addc_co_u32_e32 v9, vcc, 0, v5, vcc
	v_add_co_u32_e32 v16, vcc, s20, v2
	v_addc_co_u32_e32 v17, vcc, v9, v1, vcc
	v_cmp_eq_u64_e32 vcc, 0, v[16:17]
	v_cndmask_b32_e32 v17, v17, v9, vcc
	v_cndmask_b32_e32 v16, v16, v2, vcc
	v_and_b32_e32 v1, v17, v5
	v_and_b32_e32 v2, v16, v4
	v_mul_lo_u32 v1, v1, 24
	v_mul_hi_u32 v4, v2, 24
	v_mul_lo_u32 v2, v2, 24
	v_add_u32_e32 v1, v4, v1
	s_waitcnt vmcnt(0)
	v_add_co_u32_e32 v4, vcc, v22, v2
	v_addc_co_u32_e32 v5, vcc, v23, v1, vcc
	v_mov_b32_e32 v18, v20
	global_store_dwordx2 v[4:5], v[20:21], off
	v_mov_b32_e32 v19, v21
	buffer_wbl2
	s_waitcnt vmcnt(0)
	global_atomic_cmpswap_x2 v[18:19], v43, v[16:19], s[2:3] offset:24 glc
	s_waitcnt vmcnt(0)
	v_cmp_ne_u64_e32 vcc, v[18:19], v[20:21]
	s_and_b64 exec, exec, vcc
	s_cbranch_execz .LBB4_394
; %bb.474:                              ;   in Loop: Header=BB4_395 Depth=2
	s_mov_b64 s[0:1], 0
.LBB4_475:                              ;   Parent Loop BB4_3 Depth=1
                                        ;     Parent Loop BB4_395 Depth=2
                                        ; =>    This Inner Loop Header: Depth=3
	s_sleep 1
	global_store_dwordx2 v[4:5], v[18:19], off
	buffer_wbl2
	s_waitcnt vmcnt(0)
	global_atomic_cmpswap_x2 v[20:21], v43, v[16:19], s[2:3] offset:24 glc
	s_waitcnt vmcnt(0)
	v_cmp_eq_u64_e32 vcc, v[20:21], v[18:19]
	s_or_b64 s[0:1], vcc, s[0:1]
	v_pk_mov_b32 v[18:19], v[20:21], v[20:21] op_sel:[0,1]
	s_andn2_b64 exec, exec, s[0:1]
	s_cbranch_execnz .LBB4_475
	s_branch .LBB4_394
.LBB4_476:                              ;   in Loop: Header=BB4_3 Depth=1
	s_branch .LBB4_533
.LBB4_477:                              ;   in Loop: Header=BB4_3 Depth=1
                                        ; implicit-def: $vgpr12_vgpr13
	s_cbranch_execz .LBB4_392
; %bb.478:                              ;   in Loop: Header=BB4_3 Depth=1
	v_readfirstlane_b32 s0, v40
	v_cmp_eq_u32_e64 s[0:1], s0, v40
	v_pk_mov_b32 v[4:5], 0, 0
	s_and_saveexec_b64 s[14:15], s[0:1]
	s_cbranch_execz .LBB4_484
; %bb.479:                              ;   in Loop: Header=BB4_3 Depth=1
	global_load_dwordx2 v[14:15], v43, s[2:3] offset:24 glc
	s_waitcnt vmcnt(0)
	buffer_invl2
	buffer_wbinvl1_vol
	global_load_dwordx2 v[4:5], v43, s[2:3] offset:40
	global_load_dwordx2 v[8:9], v43, s[2:3]
	s_waitcnt vmcnt(1)
	v_and_b32_e32 v1, v4, v14
	v_and_b32_e32 v2, v5, v15
	v_mul_lo_u32 v2, v2, 24
	v_mul_hi_u32 v4, v1, 24
	v_mul_lo_u32 v1, v1, 24
	v_add_u32_e32 v2, v4, v2
	s_waitcnt vmcnt(0)
	v_add_co_u32_e32 v4, vcc, v8, v1
	v_addc_co_u32_e32 v5, vcc, v9, v2, vcc
	global_load_dwordx2 v[12:13], v[4:5], off glc
	s_waitcnt vmcnt(0)
	global_atomic_cmpswap_x2 v[4:5], v43, v[12:15], s[2:3] offset:24 glc
	s_waitcnt vmcnt(0)
	buffer_invl2
	buffer_wbinvl1_vol
	v_cmp_ne_u64_e32 vcc, v[4:5], v[14:15]
	s_and_saveexec_b64 s[16:17], vcc
	s_cbranch_execz .LBB4_483
; %bb.480:                              ;   in Loop: Header=BB4_3 Depth=1
	s_mov_b64 s[18:19], 0
.LBB4_481:                              ;   Parent Loop BB4_3 Depth=1
                                        ; =>  This Inner Loop Header: Depth=2
	s_sleep 1
	global_load_dwordx2 v[8:9], v43, s[2:3] offset:40
	global_load_dwordx2 v[12:13], v43, s[2:3]
	v_pk_mov_b32 v[14:15], v[4:5], v[4:5] op_sel:[0,1]
	s_waitcnt vmcnt(1)
	v_and_b32_e32 v2, v8, v14
	s_waitcnt vmcnt(0)
	v_mad_u64_u32 v[4:5], s[20:21], v2, 24, v[12:13]
	v_and_b32_e32 v1, v9, v15
	v_mov_b32_e32 v2, v5
	v_mad_u64_u32 v[8:9], s[20:21], v1, 24, v[2:3]
	v_mov_b32_e32 v5, v8
	global_load_dwordx2 v[12:13], v[4:5], off glc
	s_waitcnt vmcnt(0)
	global_atomic_cmpswap_x2 v[4:5], v43, v[12:15], s[2:3] offset:24 glc
	s_waitcnt vmcnt(0)
	buffer_invl2
	buffer_wbinvl1_vol
	v_cmp_eq_u64_e32 vcc, v[4:5], v[14:15]
	s_or_b64 s[18:19], vcc, s[18:19]
	s_andn2_b64 exec, exec, s[18:19]
	s_cbranch_execnz .LBB4_481
; %bb.482:                              ;   in Loop: Header=BB4_3 Depth=1
	s_or_b64 exec, exec, s[18:19]
.LBB4_483:                              ;   in Loop: Header=BB4_3 Depth=1
	s_or_b64 exec, exec, s[16:17]
.LBB4_484:                              ;   in Loop: Header=BB4_3 Depth=1
	s_or_b64 exec, exec, s[14:15]
	global_load_dwordx2 v[8:9], v43, s[2:3] offset:40
	global_load_dwordx4 v[12:15], v43, s[2:3]
	v_readfirstlane_b32 s14, v4
	v_readfirstlane_b32 s15, v5
	s_mov_b64 s[16:17], exec
	s_waitcnt vmcnt(1)
	v_readfirstlane_b32 s18, v8
	v_readfirstlane_b32 s19, v9
	s_and_b64 s[18:19], s[14:15], s[18:19]
	s_mul_i32 s20, s19, 24
	s_mul_hi_u32 s21, s18, 24
	s_mul_i32 s22, s18, 24
	s_add_i32 s20, s21, s20
	v_mov_b32_e32 v1, s20
	s_waitcnt vmcnt(0)
	v_add_co_u32_e32 v8, vcc, s22, v12
	v_addc_co_u32_e32 v9, vcc, v13, v1, vcc
	s_and_saveexec_b64 s[20:21], s[0:1]
	s_cbranch_execz .LBB4_486
; %bb.485:                              ;   in Loop: Header=BB4_3 Depth=1
	v_pk_mov_b32 v[4:5], s[16:17], s[16:17] op_sel:[0,1]
	global_store_dwordx4 v[8:9], v[4:7], off offset:8
.LBB4_486:                              ;   in Loop: Header=BB4_3 Depth=1
	s_or_b64 exec, exec, s[20:21]
	s_lshl_b64 s[16:17], s[18:19], 12
	v_mov_b32_e32 v1, s17
	v_add_co_u32_e32 v4, vcc, s16, v14
	v_addc_co_u32_e32 v1, vcc, v15, v1, vcc
	v_and_or_b32 v16, v16, s29, 32
	v_mov_b32_e32 v18, v3
	v_mov_b32_e32 v19, v3
	v_readfirstlane_b32 s16, v4
	v_readfirstlane_b32 s17, v1
	s_nop 4
	global_store_dwordx4 v45, v[16:19], s[16:17]
	s_nop 0
	v_pk_mov_b32 v[16:17], s[10:11], s[10:11] op_sel:[0,1]
	v_pk_mov_b32 v[14:15], s[8:9], s[8:9] op_sel:[0,1]
	global_store_dwordx4 v45, v[14:17], s[16:17] offset:16
	global_store_dwordx4 v45, v[14:17], s[16:17] offset:32
	;; [unrolled: 1-line block ×3, first 2 shown]
	s_and_saveexec_b64 s[16:17], s[0:1]
	s_cbranch_execz .LBB4_494
; %bb.487:                              ;   in Loop: Header=BB4_3 Depth=1
	global_load_dwordx2 v[20:21], v43, s[2:3] offset:32 glc
	global_load_dwordx2 v[14:15], v43, s[2:3] offset:40
	v_mov_b32_e32 v18, s14
	v_mov_b32_e32 v19, s15
	s_waitcnt vmcnt(0)
	v_readfirstlane_b32 s18, v14
	v_readfirstlane_b32 s19, v15
	s_and_b64 s[18:19], s[18:19], s[14:15]
	s_mul_i32 s19, s19, 24
	s_mul_hi_u32 s20, s18, 24
	s_mul_i32 s18, s18, 24
	s_add_i32 s19, s20, s19
	v_mov_b32_e32 v2, s19
	v_add_co_u32_e32 v16, vcc, s18, v12
	v_addc_co_u32_e32 v17, vcc, v13, v2, vcc
	global_store_dwordx2 v[16:17], v[20:21], off
	buffer_wbl2
	s_waitcnt vmcnt(0)
	global_atomic_cmpswap_x2 v[14:15], v43, v[18:21], s[2:3] offset:32 glc
	s_waitcnt vmcnt(0)
	v_cmp_ne_u64_e32 vcc, v[14:15], v[20:21]
	s_and_saveexec_b64 s[18:19], vcc
	s_cbranch_execz .LBB4_490
; %bb.488:                              ;   in Loop: Header=BB4_3 Depth=1
	s_mov_b64 s[20:21], 0
.LBB4_489:                              ;   Parent Loop BB4_3 Depth=1
                                        ; =>  This Inner Loop Header: Depth=2
	s_sleep 1
	global_store_dwordx2 v[16:17], v[14:15], off
	v_mov_b32_e32 v12, s14
	v_mov_b32_e32 v13, s15
	buffer_wbl2
	s_waitcnt vmcnt(0)
	global_atomic_cmpswap_x2 v[12:13], v43, v[12:15], s[2:3] offset:32 glc
	s_waitcnt vmcnt(0)
	v_cmp_eq_u64_e32 vcc, v[12:13], v[14:15]
	s_or_b64 s[20:21], vcc, s[20:21]
	v_pk_mov_b32 v[14:15], v[12:13], v[12:13] op_sel:[0,1]
	s_andn2_b64 exec, exec, s[20:21]
	s_cbranch_execnz .LBB4_489
.LBB4_490:                              ;   in Loop: Header=BB4_3 Depth=1
	s_or_b64 exec, exec, s[18:19]
	global_load_dwordx2 v[12:13], v43, s[2:3] offset:16
	s_mov_b64 s[20:21], exec
	v_mbcnt_lo_u32_b32 v2, s20, 0
	v_mbcnt_hi_u32_b32 v2, s21, v2
	v_cmp_eq_u32_e32 vcc, 0, v2
	s_and_saveexec_b64 s[18:19], vcc
	s_cbranch_execz .LBB4_492
; %bb.491:                              ;   in Loop: Header=BB4_3 Depth=1
	s_bcnt1_i32_b64 s20, s[20:21]
	v_mov_b32_e32 v2, s20
	buffer_wbl2
	s_waitcnt vmcnt(0)
	global_atomic_add_x2 v[12:13], v[2:3], off offset:8
.LBB4_492:                              ;   in Loop: Header=BB4_3 Depth=1
	s_or_b64 exec, exec, s[18:19]
	s_waitcnt vmcnt(0)
	global_load_dwordx2 v[14:15], v[12:13], off offset:16
	s_waitcnt vmcnt(0)
	v_cmp_eq_u64_e32 vcc, 0, v[14:15]
	s_cbranch_vccnz .LBB4_494
; %bb.493:                              ;   in Loop: Header=BB4_3 Depth=1
	global_load_dword v42, v[12:13], off offset:24
	s_waitcnt vmcnt(0)
	v_and_b32_e32 v2, 0xffffff, v42
	v_readfirstlane_b32 m0, v2
	buffer_wbl2
	global_store_dwordx2 v[14:15], v[42:43], off
	s_sendmsg sendmsg(MSG_INTERRUPT)
.LBB4_494:                              ;   in Loop: Header=BB4_3 Depth=1
	s_or_b64 exec, exec, s[16:17]
	v_add_co_u32_e32 v4, vcc, v4, v45
	v_addc_co_u32_e32 v5, vcc, 0, v1, vcc
	s_branch .LBB4_498
.LBB4_495:                              ;   in Loop: Header=BB4_498 Depth=2
	s_or_b64 exec, exec, s[16:17]
	v_readfirstlane_b32 s16, v1
	s_cmp_eq_u32 s16, 0
	s_cbranch_scc1 .LBB4_497
; %bb.496:                              ;   in Loop: Header=BB4_498 Depth=2
	s_sleep 1
	s_cbranch_execnz .LBB4_498
	s_branch .LBB4_500
.LBB4_497:                              ;   in Loop: Header=BB4_3 Depth=1
	s_branch .LBB4_500
.LBB4_498:                              ;   Parent Loop BB4_3 Depth=1
                                        ; =>  This Inner Loop Header: Depth=2
	v_mov_b32_e32 v1, 1
	s_and_saveexec_b64 s[16:17], s[0:1]
	s_cbranch_execz .LBB4_495
; %bb.499:                              ;   in Loop: Header=BB4_498 Depth=2
	global_load_dword v1, v[8:9], off offset:20 glc
	s_waitcnt vmcnt(0)
	buffer_invl2
	buffer_wbinvl1_vol
	v_and_b32_e32 v1, 1, v1
	s_branch .LBB4_495
.LBB4_500:                              ;   in Loop: Header=BB4_3 Depth=1
	global_load_dwordx2 v[12:13], v[4:5], off
	s_and_saveexec_b64 s[16:17], s[0:1]
	s_cbranch_execz .LBB4_504
; %bb.501:                              ;   in Loop: Header=BB4_3 Depth=1
	global_load_dwordx2 v[4:5], v43, s[2:3] offset:40
	global_load_dwordx2 v[8:9], v43, s[2:3] offset:24 glc
	global_load_dwordx2 v[18:19], v43, s[2:3]
	v_mov_b32_e32 v1, s15
	s_waitcnt vmcnt(2)
	v_add_co_u32_e32 v2, vcc, 1, v4
	v_addc_co_u32_e32 v11, vcc, 0, v5, vcc
	v_add_co_u32_e32 v14, vcc, s14, v2
	v_addc_co_u32_e32 v15, vcc, v11, v1, vcc
	v_cmp_eq_u64_e32 vcc, 0, v[14:15]
	v_cndmask_b32_e32 v15, v15, v11, vcc
	v_cndmask_b32_e32 v14, v14, v2, vcc
	v_and_b32_e32 v1, v15, v5
	v_and_b32_e32 v2, v14, v4
	v_mul_lo_u32 v1, v1, 24
	v_mul_hi_u32 v4, v2, 24
	v_mul_lo_u32 v2, v2, 24
	v_add_u32_e32 v1, v4, v1
	s_waitcnt vmcnt(0)
	v_add_co_u32_e32 v4, vcc, v18, v2
	v_addc_co_u32_e32 v5, vcc, v19, v1, vcc
	v_mov_b32_e32 v16, v8
	global_store_dwordx2 v[4:5], v[8:9], off
	v_mov_b32_e32 v17, v9
	buffer_wbl2
	s_waitcnt vmcnt(0)
	global_atomic_cmpswap_x2 v[16:17], v43, v[14:17], s[2:3] offset:24 glc
	s_waitcnt vmcnt(0)
	v_cmp_ne_u64_e32 vcc, v[16:17], v[8:9]
	s_and_b64 exec, exec, vcc
	s_cbranch_execz .LBB4_504
; %bb.502:                              ;   in Loop: Header=BB4_3 Depth=1
	s_mov_b64 s[0:1], 0
.LBB4_503:                              ;   Parent Loop BB4_3 Depth=1
                                        ; =>  This Inner Loop Header: Depth=2
	s_sleep 1
	global_store_dwordx2 v[4:5], v[16:17], off
	buffer_wbl2
	s_waitcnt vmcnt(0)
	global_atomic_cmpswap_x2 v[8:9], v43, v[14:17], s[2:3] offset:24 glc
	s_waitcnt vmcnt(0)
	v_cmp_eq_u64_e32 vcc, v[8:9], v[16:17]
	s_or_b64 s[0:1], vcc, s[0:1]
	v_pk_mov_b32 v[16:17], v[8:9], v[8:9] op_sel:[0,1]
	s_andn2_b64 exec, exec, s[0:1]
	s_cbranch_execnz .LBB4_503
.LBB4_504:                              ;   in Loop: Header=BB4_3 Depth=1
	s_or_b64 exec, exec, s[16:17]
	s_and_b64 vcc, exec, s[12:13]
	s_cbranch_vccnz .LBB4_393
.LBB4_505:                              ;   in Loop: Header=BB4_3 Depth=1
                                        ; implicit-def: $vgpr14_vgpr15
	s_cbranch_execz .LBB4_533
; %bb.506:                              ;   in Loop: Header=BB4_3 Depth=1
	v_readfirstlane_b32 s0, v40
	v_cmp_eq_u32_e64 s[0:1], s0, v40
	v_pk_mov_b32 v[4:5], 0, 0
	s_and_saveexec_b64 s[14:15], s[0:1]
	s_cbranch_execz .LBB4_512
; %bb.507:                              ;   in Loop: Header=BB4_3 Depth=1
	global_load_dwordx2 v[16:17], v43, s[2:3] offset:24 glc
	s_waitcnt vmcnt(0)
	buffer_invl2
	buffer_wbinvl1_vol
	global_load_dwordx2 v[4:5], v43, s[2:3] offset:40
	global_load_dwordx2 v[8:9], v43, s[2:3]
	s_waitcnt vmcnt(1)
	v_and_b32_e32 v1, v4, v16
	v_and_b32_e32 v2, v5, v17
	v_mul_lo_u32 v2, v2, 24
	v_mul_hi_u32 v4, v1, 24
	v_mul_lo_u32 v1, v1, 24
	v_add_u32_e32 v2, v4, v2
	s_waitcnt vmcnt(0)
	v_add_co_u32_e32 v4, vcc, v8, v1
	v_addc_co_u32_e32 v5, vcc, v9, v2, vcc
	global_load_dwordx2 v[14:15], v[4:5], off glc
	s_waitcnt vmcnt(0)
	global_atomic_cmpswap_x2 v[4:5], v43, v[14:17], s[2:3] offset:24 glc
	s_waitcnt vmcnt(0)
	buffer_invl2
	buffer_wbinvl1_vol
	v_cmp_ne_u64_e32 vcc, v[4:5], v[16:17]
	s_and_saveexec_b64 s[16:17], vcc
	s_cbranch_execz .LBB4_511
; %bb.508:                              ;   in Loop: Header=BB4_3 Depth=1
	s_mov_b64 s[18:19], 0
.LBB4_509:                              ;   Parent Loop BB4_3 Depth=1
                                        ; =>  This Inner Loop Header: Depth=2
	s_sleep 1
	global_load_dwordx2 v[8:9], v43, s[2:3] offset:40
	global_load_dwordx2 v[14:15], v43, s[2:3]
	v_pk_mov_b32 v[16:17], v[4:5], v[4:5] op_sel:[0,1]
	s_waitcnt vmcnt(1)
	v_and_b32_e32 v2, v8, v16
	s_waitcnt vmcnt(0)
	v_mad_u64_u32 v[4:5], s[20:21], v2, 24, v[14:15]
	v_and_b32_e32 v1, v9, v17
	v_mov_b32_e32 v2, v5
	v_mad_u64_u32 v[8:9], s[20:21], v1, 24, v[2:3]
	v_mov_b32_e32 v5, v8
	global_load_dwordx2 v[14:15], v[4:5], off glc
	s_waitcnt vmcnt(0)
	global_atomic_cmpswap_x2 v[4:5], v43, v[14:17], s[2:3] offset:24 glc
	s_waitcnt vmcnt(0)
	buffer_invl2
	buffer_wbinvl1_vol
	v_cmp_eq_u64_e32 vcc, v[4:5], v[16:17]
	s_or_b64 s[18:19], vcc, s[18:19]
	s_andn2_b64 exec, exec, s[18:19]
	s_cbranch_execnz .LBB4_509
; %bb.510:                              ;   in Loop: Header=BB4_3 Depth=1
	s_or_b64 exec, exec, s[18:19]
.LBB4_511:                              ;   in Loop: Header=BB4_3 Depth=1
	s_or_b64 exec, exec, s[16:17]
.LBB4_512:                              ;   in Loop: Header=BB4_3 Depth=1
	s_or_b64 exec, exec, s[14:15]
	global_load_dwordx2 v[8:9], v43, s[2:3] offset:40
	global_load_dwordx4 v[16:19], v43, s[2:3]
	v_readfirstlane_b32 s14, v4
	v_readfirstlane_b32 s15, v5
	s_mov_b64 s[16:17], exec
	s_waitcnt vmcnt(1)
	v_readfirstlane_b32 s18, v8
	v_readfirstlane_b32 s19, v9
	s_and_b64 s[18:19], s[14:15], s[18:19]
	s_mul_i32 s20, s19, 24
	s_mul_hi_u32 s21, s18, 24
	s_mul_i32 s22, s18, 24
	s_add_i32 s20, s21, s20
	v_mov_b32_e32 v1, s20
	s_waitcnt vmcnt(0)
	v_add_co_u32_e32 v8, vcc, s22, v16
	v_addc_co_u32_e32 v9, vcc, v17, v1, vcc
	s_and_saveexec_b64 s[20:21], s[0:1]
	s_cbranch_execz .LBB4_514
; %bb.513:                              ;   in Loop: Header=BB4_3 Depth=1
	v_pk_mov_b32 v[4:5], s[16:17], s[16:17] op_sel:[0,1]
	global_store_dwordx4 v[8:9], v[4:7], off offset:8
.LBB4_514:                              ;   in Loop: Header=BB4_3 Depth=1
	s_or_b64 exec, exec, s[20:21]
	s_lshl_b64 s[16:17], s[18:19], 12
	v_mov_b32_e32 v1, s17
	v_add_co_u32_e32 v4, vcc, s16, v18
	v_addc_co_u32_e32 v1, vcc, v19, v1, vcc
	v_and_or_b32 v12, v12, s29, 32
	v_mov_b32_e32 v14, v3
	v_mov_b32_e32 v15, v3
	v_readfirstlane_b32 s16, v4
	v_readfirstlane_b32 s17, v1
	s_nop 4
	global_store_dwordx4 v45, v[12:15], s[16:17]
	s_nop 0
	v_pk_mov_b32 v[14:15], s[10:11], s[10:11] op_sel:[0,1]
	v_pk_mov_b32 v[12:13], s[8:9], s[8:9] op_sel:[0,1]
	global_store_dwordx4 v45, v[12:15], s[16:17] offset:16
	global_store_dwordx4 v45, v[12:15], s[16:17] offset:32
	;; [unrolled: 1-line block ×3, first 2 shown]
	s_and_saveexec_b64 s[16:17], s[0:1]
	s_cbranch_execz .LBB4_522
; %bb.515:                              ;   in Loop: Header=BB4_3 Depth=1
	global_load_dwordx2 v[20:21], v43, s[2:3] offset:32 glc
	global_load_dwordx2 v[12:13], v43, s[2:3] offset:40
	v_mov_b32_e32 v18, s14
	v_mov_b32_e32 v19, s15
	s_waitcnt vmcnt(0)
	v_readfirstlane_b32 s18, v12
	v_readfirstlane_b32 s19, v13
	s_and_b64 s[18:19], s[18:19], s[14:15]
	s_mul_i32 s19, s19, 24
	s_mul_hi_u32 s20, s18, 24
	s_mul_i32 s18, s18, 24
	s_add_i32 s19, s20, s19
	v_mov_b32_e32 v2, s19
	v_add_co_u32_e32 v16, vcc, s18, v16
	v_addc_co_u32_e32 v17, vcc, v17, v2, vcc
	global_store_dwordx2 v[16:17], v[20:21], off
	buffer_wbl2
	s_waitcnt vmcnt(0)
	global_atomic_cmpswap_x2 v[14:15], v43, v[18:21], s[2:3] offset:32 glc
	s_waitcnt vmcnt(0)
	v_cmp_ne_u64_e32 vcc, v[14:15], v[20:21]
	s_and_saveexec_b64 s[18:19], vcc
	s_cbranch_execz .LBB4_518
; %bb.516:                              ;   in Loop: Header=BB4_3 Depth=1
	s_mov_b64 s[20:21], 0
.LBB4_517:                              ;   Parent Loop BB4_3 Depth=1
                                        ; =>  This Inner Loop Header: Depth=2
	s_sleep 1
	global_store_dwordx2 v[16:17], v[14:15], off
	v_mov_b32_e32 v12, s14
	v_mov_b32_e32 v13, s15
	buffer_wbl2
	s_waitcnt vmcnt(0)
	global_atomic_cmpswap_x2 v[12:13], v43, v[12:15], s[2:3] offset:32 glc
	s_waitcnt vmcnt(0)
	v_cmp_eq_u64_e32 vcc, v[12:13], v[14:15]
	s_or_b64 s[20:21], vcc, s[20:21]
	v_pk_mov_b32 v[14:15], v[12:13], v[12:13] op_sel:[0,1]
	s_andn2_b64 exec, exec, s[20:21]
	s_cbranch_execnz .LBB4_517
.LBB4_518:                              ;   in Loop: Header=BB4_3 Depth=1
	s_or_b64 exec, exec, s[18:19]
	global_load_dwordx2 v[12:13], v43, s[2:3] offset:16
	s_mov_b64 s[20:21], exec
	v_mbcnt_lo_u32_b32 v2, s20, 0
	v_mbcnt_hi_u32_b32 v2, s21, v2
	v_cmp_eq_u32_e32 vcc, 0, v2
	s_and_saveexec_b64 s[18:19], vcc
	s_cbranch_execz .LBB4_520
; %bb.519:                              ;   in Loop: Header=BB4_3 Depth=1
	s_bcnt1_i32_b64 s20, s[20:21]
	v_mov_b32_e32 v2, s20
	buffer_wbl2
	s_waitcnt vmcnt(0)
	global_atomic_add_x2 v[12:13], v[2:3], off offset:8
.LBB4_520:                              ;   in Loop: Header=BB4_3 Depth=1
	s_or_b64 exec, exec, s[18:19]
	s_waitcnt vmcnt(0)
	global_load_dwordx2 v[14:15], v[12:13], off offset:16
	s_waitcnt vmcnt(0)
	v_cmp_eq_u64_e32 vcc, 0, v[14:15]
	s_cbranch_vccnz .LBB4_522
; %bb.521:                              ;   in Loop: Header=BB4_3 Depth=1
	global_load_dword v42, v[12:13], off offset:24
	s_waitcnt vmcnt(0)
	v_and_b32_e32 v2, 0xffffff, v42
	v_readfirstlane_b32 m0, v2
	buffer_wbl2
	global_store_dwordx2 v[14:15], v[42:43], off
	s_sendmsg sendmsg(MSG_INTERRUPT)
.LBB4_522:                              ;   in Loop: Header=BB4_3 Depth=1
	s_or_b64 exec, exec, s[16:17]
	v_add_co_u32_e32 v4, vcc, v4, v45
	v_addc_co_u32_e32 v5, vcc, 0, v1, vcc
	s_branch .LBB4_526
.LBB4_523:                              ;   in Loop: Header=BB4_526 Depth=2
	s_or_b64 exec, exec, s[16:17]
	v_readfirstlane_b32 s16, v1
	s_cmp_eq_u32 s16, 0
	s_cbranch_scc1 .LBB4_525
; %bb.524:                              ;   in Loop: Header=BB4_526 Depth=2
	s_sleep 1
	s_cbranch_execnz .LBB4_526
	s_branch .LBB4_528
.LBB4_525:                              ;   in Loop: Header=BB4_3 Depth=1
	s_branch .LBB4_528
.LBB4_526:                              ;   Parent Loop BB4_3 Depth=1
                                        ; =>  This Inner Loop Header: Depth=2
	v_mov_b32_e32 v1, 1
	s_and_saveexec_b64 s[16:17], s[0:1]
	s_cbranch_execz .LBB4_523
; %bb.527:                              ;   in Loop: Header=BB4_526 Depth=2
	global_load_dword v1, v[8:9], off offset:20 glc
	s_waitcnt vmcnt(0)
	buffer_invl2
	buffer_wbinvl1_vol
	v_and_b32_e32 v1, 1, v1
	s_branch .LBB4_523
.LBB4_528:                              ;   in Loop: Header=BB4_3 Depth=1
	global_load_dwordx2 v[14:15], v[4:5], off
	s_and_saveexec_b64 s[16:17], s[0:1]
	s_cbranch_execz .LBB4_532
; %bb.529:                              ;   in Loop: Header=BB4_3 Depth=1
	global_load_dwordx2 v[4:5], v43, s[2:3] offset:40
	global_load_dwordx2 v[8:9], v43, s[2:3] offset:24 glc
	global_load_dwordx2 v[12:13], v43, s[2:3]
	v_mov_b32_e32 v1, s15
	s_waitcnt vmcnt(2)
	v_add_co_u32_e32 v2, vcc, 1, v4
	v_addc_co_u32_e32 v11, vcc, 0, v5, vcc
	v_add_co_u32_e32 v16, vcc, s14, v2
	v_addc_co_u32_e32 v17, vcc, v11, v1, vcc
	v_cmp_eq_u64_e32 vcc, 0, v[16:17]
	v_cndmask_b32_e32 v17, v17, v11, vcc
	v_cndmask_b32_e32 v16, v16, v2, vcc
	v_and_b32_e32 v1, v17, v5
	v_and_b32_e32 v2, v16, v4
	v_mul_lo_u32 v1, v1, 24
	v_mul_hi_u32 v4, v2, 24
	v_mul_lo_u32 v2, v2, 24
	v_add_u32_e32 v1, v4, v1
	s_waitcnt vmcnt(0)
	v_add_co_u32_e32 v4, vcc, v12, v2
	v_addc_co_u32_e32 v5, vcc, v13, v1, vcc
	v_mov_b32_e32 v18, v8
	global_store_dwordx2 v[4:5], v[8:9], off
	v_mov_b32_e32 v19, v9
	buffer_wbl2
	s_waitcnt vmcnt(0)
	global_atomic_cmpswap_x2 v[18:19], v43, v[16:19], s[2:3] offset:24 glc
	s_waitcnt vmcnt(0)
	v_cmp_ne_u64_e32 vcc, v[18:19], v[8:9]
	s_and_b64 exec, exec, vcc
	s_cbranch_execz .LBB4_532
; %bb.530:                              ;   in Loop: Header=BB4_3 Depth=1
	s_mov_b64 s[0:1], 0
.LBB4_531:                              ;   Parent Loop BB4_3 Depth=1
                                        ; =>  This Inner Loop Header: Depth=2
	s_sleep 1
	global_store_dwordx2 v[4:5], v[18:19], off
	buffer_wbl2
	s_waitcnt vmcnt(0)
	global_atomic_cmpswap_x2 v[8:9], v43, v[16:19], s[2:3] offset:24 glc
	s_waitcnt vmcnt(0)
	v_cmp_eq_u64_e32 vcc, v[8:9], v[18:19]
	s_or_b64 s[0:1], vcc, s[0:1]
	v_pk_mov_b32 v[18:19], v[8:9], v[8:9] op_sel:[0,1]
	s_andn2_b64 exec, exec, s[0:1]
	s_cbranch_execnz .LBB4_531
.LBB4_532:                              ;   in Loop: Header=BB4_3 Depth=1
	s_or_b64 exec, exec, s[16:17]
.LBB4_533:                              ;   in Loop: Header=BB4_3 Depth=1
	v_readfirstlane_b32 s0, v40
	v_cmp_eq_u32_e64 s[0:1], s0, v40
	v_pk_mov_b32 v[4:5], 0, 0
	s_and_saveexec_b64 s[14:15], s[0:1]
	s_cbranch_execz .LBB4_539
; %bb.534:                              ;   in Loop: Header=BB4_3 Depth=1
	global_load_dwordx2 v[18:19], v43, s[2:3] offset:24 glc
	s_waitcnt vmcnt(0)
	buffer_invl2
	buffer_wbinvl1_vol
	global_load_dwordx2 v[4:5], v43, s[2:3] offset:40
	global_load_dwordx2 v[8:9], v43, s[2:3]
	s_waitcnt vmcnt(1)
	v_and_b32_e32 v1, v4, v18
	v_and_b32_e32 v2, v5, v19
	v_mul_lo_u32 v2, v2, 24
	v_mul_hi_u32 v4, v1, 24
	v_mul_lo_u32 v1, v1, 24
	v_add_u32_e32 v2, v4, v2
	s_waitcnt vmcnt(0)
	v_add_co_u32_e32 v4, vcc, v8, v1
	v_addc_co_u32_e32 v5, vcc, v9, v2, vcc
	global_load_dwordx2 v[16:17], v[4:5], off glc
	s_waitcnt vmcnt(0)
	global_atomic_cmpswap_x2 v[4:5], v43, v[16:19], s[2:3] offset:24 glc
	s_waitcnt vmcnt(0)
	buffer_invl2
	buffer_wbinvl1_vol
	v_cmp_ne_u64_e32 vcc, v[4:5], v[18:19]
	s_and_saveexec_b64 s[16:17], vcc
	s_cbranch_execz .LBB4_538
; %bb.535:                              ;   in Loop: Header=BB4_3 Depth=1
	s_mov_b64 s[18:19], 0
.LBB4_536:                              ;   Parent Loop BB4_3 Depth=1
                                        ; =>  This Inner Loop Header: Depth=2
	s_sleep 1
	global_load_dwordx2 v[8:9], v43, s[2:3] offset:40
	global_load_dwordx2 v[12:13], v43, s[2:3]
	v_pk_mov_b32 v[18:19], v[4:5], v[4:5] op_sel:[0,1]
	s_waitcnt vmcnt(1)
	v_and_b32_e32 v2, v8, v18
	s_waitcnt vmcnt(0)
	v_mad_u64_u32 v[4:5], s[20:21], v2, 24, v[12:13]
	v_and_b32_e32 v1, v9, v19
	v_mov_b32_e32 v2, v5
	v_mad_u64_u32 v[8:9], s[20:21], v1, 24, v[2:3]
	v_mov_b32_e32 v5, v8
	global_load_dwordx2 v[16:17], v[4:5], off glc
	s_waitcnt vmcnt(0)
	global_atomic_cmpswap_x2 v[4:5], v43, v[16:19], s[2:3] offset:24 glc
	s_waitcnt vmcnt(0)
	buffer_invl2
	buffer_wbinvl1_vol
	v_cmp_eq_u64_e32 vcc, v[4:5], v[18:19]
	s_or_b64 s[18:19], vcc, s[18:19]
	s_andn2_b64 exec, exec, s[18:19]
	s_cbranch_execnz .LBB4_536
; %bb.537:                              ;   in Loop: Header=BB4_3 Depth=1
	s_or_b64 exec, exec, s[18:19]
.LBB4_538:                              ;   in Loop: Header=BB4_3 Depth=1
	s_or_b64 exec, exec, s[16:17]
.LBB4_539:                              ;   in Loop: Header=BB4_3 Depth=1
	s_or_b64 exec, exec, s[14:15]
	global_load_dwordx2 v[8:9], v43, s[2:3] offset:40
	global_load_dwordx4 v[18:21], v43, s[2:3]
	v_readfirstlane_b32 s14, v4
	v_readfirstlane_b32 s15, v5
	s_mov_b64 s[16:17], exec
	s_waitcnt vmcnt(1)
	v_readfirstlane_b32 s18, v8
	v_readfirstlane_b32 s19, v9
	s_and_b64 s[18:19], s[14:15], s[18:19]
	s_mul_i32 s20, s19, 24
	s_mul_hi_u32 s21, s18, 24
	s_mul_i32 s22, s18, 24
	s_add_i32 s20, s21, s20
	v_mov_b32_e32 v1, s20
	s_waitcnt vmcnt(0)
	v_add_co_u32_e32 v8, vcc, s22, v18
	v_addc_co_u32_e32 v9, vcc, v19, v1, vcc
	s_and_saveexec_b64 s[20:21], s[0:1]
	s_cbranch_execz .LBB4_541
; %bb.540:                              ;   in Loop: Header=BB4_3 Depth=1
	v_pk_mov_b32 v[4:5], s[16:17], s[16:17] op_sel:[0,1]
	global_store_dwordx4 v[8:9], v[4:7], off offset:8
.LBB4_541:                              ;   in Loop: Header=BB4_3 Depth=1
	s_or_b64 exec, exec, s[20:21]
	s_lshl_b64 s[16:17], s[18:19], 12
	v_mov_b32_e32 v1, s17
	v_add_co_u32_e32 v4, vcc, s16, v20
	v_addc_co_u32_e32 v1, vcc, v21, v1, vcc
	v_add_u32_e32 v16, v10, v38
	v_and_or_b32 v14, v14, s30, 34
	v_mov_b32_e32 v17, v3
	v_readfirstlane_b32 s16, v4
	v_readfirstlane_b32 s17, v1
	s_nop 4
	global_store_dwordx4 v45, v[14:17], s[16:17]
	s_nop 0
	v_pk_mov_b32 v[14:15], s[10:11], s[10:11] op_sel:[0,1]
	v_pk_mov_b32 v[12:13], s[8:9], s[8:9] op_sel:[0,1]
	global_store_dwordx4 v45, v[12:15], s[16:17] offset:16
	global_store_dwordx4 v45, v[12:15], s[16:17] offset:32
	;; [unrolled: 1-line block ×3, first 2 shown]
	s_and_saveexec_b64 s[16:17], s[0:1]
	s_cbranch_execz .LBB4_549
; %bb.542:                              ;   in Loop: Header=BB4_3 Depth=1
	global_load_dwordx2 v[22:23], v43, s[2:3] offset:32 glc
	global_load_dwordx2 v[12:13], v43, s[2:3] offset:40
	v_mov_b32_e32 v20, s14
	v_mov_b32_e32 v21, s15
	s_waitcnt vmcnt(0)
	v_readfirstlane_b32 s18, v12
	v_readfirstlane_b32 s19, v13
	s_and_b64 s[18:19], s[18:19], s[14:15]
	s_mul_i32 s19, s19, 24
	s_mul_hi_u32 s20, s18, 24
	s_mul_i32 s18, s18, 24
	s_add_i32 s19, s20, s19
	v_mov_b32_e32 v2, s19
	v_add_co_u32_e32 v18, vcc, s18, v18
	v_addc_co_u32_e32 v19, vcc, v19, v2, vcc
	global_store_dwordx2 v[18:19], v[22:23], off
	buffer_wbl2
	s_waitcnt vmcnt(0)
	global_atomic_cmpswap_x2 v[14:15], v43, v[20:23], s[2:3] offset:32 glc
	s_waitcnt vmcnt(0)
	v_cmp_ne_u64_e32 vcc, v[14:15], v[22:23]
	s_and_saveexec_b64 s[18:19], vcc
	s_cbranch_execz .LBB4_545
; %bb.543:                              ;   in Loop: Header=BB4_3 Depth=1
	s_mov_b64 s[20:21], 0
.LBB4_544:                              ;   Parent Loop BB4_3 Depth=1
                                        ; =>  This Inner Loop Header: Depth=2
	s_sleep 1
	global_store_dwordx2 v[18:19], v[14:15], off
	v_mov_b32_e32 v12, s14
	v_mov_b32_e32 v13, s15
	buffer_wbl2
	s_waitcnt vmcnt(0)
	global_atomic_cmpswap_x2 v[12:13], v43, v[12:15], s[2:3] offset:32 glc
	s_waitcnt vmcnt(0)
	v_cmp_eq_u64_e32 vcc, v[12:13], v[14:15]
	s_or_b64 s[20:21], vcc, s[20:21]
	v_pk_mov_b32 v[14:15], v[12:13], v[12:13] op_sel:[0,1]
	s_andn2_b64 exec, exec, s[20:21]
	s_cbranch_execnz .LBB4_544
.LBB4_545:                              ;   in Loop: Header=BB4_3 Depth=1
	s_or_b64 exec, exec, s[18:19]
	global_load_dwordx2 v[12:13], v43, s[2:3] offset:16
	s_mov_b64 s[20:21], exec
	v_mbcnt_lo_u32_b32 v2, s20, 0
	v_mbcnt_hi_u32_b32 v2, s21, v2
	v_cmp_eq_u32_e32 vcc, 0, v2
	s_and_saveexec_b64 s[18:19], vcc
	s_cbranch_execz .LBB4_547
; %bb.546:                              ;   in Loop: Header=BB4_3 Depth=1
	s_bcnt1_i32_b64 s20, s[20:21]
	v_mov_b32_e32 v2, s20
	buffer_wbl2
	s_waitcnt vmcnt(0)
	global_atomic_add_x2 v[12:13], v[2:3], off offset:8
.LBB4_547:                              ;   in Loop: Header=BB4_3 Depth=1
	s_or_b64 exec, exec, s[18:19]
	s_waitcnt vmcnt(0)
	global_load_dwordx2 v[14:15], v[12:13], off offset:16
	s_waitcnt vmcnt(0)
	v_cmp_eq_u64_e32 vcc, 0, v[14:15]
	s_cbranch_vccnz .LBB4_549
; %bb.548:                              ;   in Loop: Header=BB4_3 Depth=1
	global_load_dword v42, v[12:13], off offset:24
	s_waitcnt vmcnt(0)
	v_and_b32_e32 v2, 0xffffff, v42
	v_readfirstlane_b32 m0, v2
	buffer_wbl2
	global_store_dwordx2 v[14:15], v[42:43], off
	s_sendmsg sendmsg(MSG_INTERRUPT)
.LBB4_549:                              ;   in Loop: Header=BB4_3 Depth=1
	s_or_b64 exec, exec, s[16:17]
	v_add_co_u32_e32 v4, vcc, v4, v45
	v_addc_co_u32_e32 v5, vcc, 0, v1, vcc
	s_branch .LBB4_553
.LBB4_550:                              ;   in Loop: Header=BB4_553 Depth=2
	s_or_b64 exec, exec, s[16:17]
	v_readfirstlane_b32 s16, v1
	s_cmp_eq_u32 s16, 0
	s_cbranch_scc1 .LBB4_552
; %bb.551:                              ;   in Loop: Header=BB4_553 Depth=2
	s_sleep 1
	s_cbranch_execnz .LBB4_553
	s_branch .LBB4_555
.LBB4_552:                              ;   in Loop: Header=BB4_3 Depth=1
	s_branch .LBB4_555
.LBB4_553:                              ;   Parent Loop BB4_3 Depth=1
                                        ; =>  This Inner Loop Header: Depth=2
	v_mov_b32_e32 v1, 1
	s_and_saveexec_b64 s[16:17], s[0:1]
	s_cbranch_execz .LBB4_550
; %bb.554:                              ;   in Loop: Header=BB4_553 Depth=2
	global_load_dword v1, v[8:9], off offset:20 glc
	s_waitcnt vmcnt(0)
	buffer_invl2
	buffer_wbinvl1_vol
	v_and_b32_e32 v1, 1, v1
	s_branch .LBB4_550
.LBB4_555:                              ;   in Loop: Header=BB4_3 Depth=1
	global_load_dwordx2 v[48:49], v[4:5], off
	s_and_saveexec_b64 s[16:17], s[0:1]
	s_cbranch_execz .LBB4_559
; %bb.556:                              ;   in Loop: Header=BB4_3 Depth=1
	global_load_dwordx2 v[4:5], v43, s[2:3] offset:40
	global_load_dwordx2 v[8:9], v43, s[2:3] offset:24 glc
	global_load_dwordx2 v[18:19], v43, s[2:3]
	v_mov_b32_e32 v1, s15
	s_waitcnt vmcnt(2)
	v_add_co_u32_e32 v2, vcc, 1, v4
	v_addc_co_u32_e32 v11, vcc, 0, v5, vcc
	v_add_co_u32_e32 v12, vcc, s14, v2
	v_addc_co_u32_e32 v13, vcc, v11, v1, vcc
	v_cmp_eq_u64_e32 vcc, 0, v[12:13]
	v_cndmask_b32_e32 v13, v13, v11, vcc
	v_cndmask_b32_e32 v12, v12, v2, vcc
	v_and_b32_e32 v1, v13, v5
	v_and_b32_e32 v2, v12, v4
	v_mul_lo_u32 v1, v1, 24
	v_mul_hi_u32 v4, v2, 24
	v_mul_lo_u32 v2, v2, 24
	v_add_u32_e32 v1, v4, v1
	s_waitcnt vmcnt(0)
	v_add_co_u32_e32 v4, vcc, v18, v2
	v_addc_co_u32_e32 v5, vcc, v19, v1, vcc
	v_mov_b32_e32 v14, v8
	global_store_dwordx2 v[4:5], v[8:9], off
	v_mov_b32_e32 v15, v9
	buffer_wbl2
	s_waitcnt vmcnt(0)
	global_atomic_cmpswap_x2 v[14:15], v43, v[12:15], s[2:3] offset:24 glc
	s_waitcnt vmcnt(0)
	v_cmp_ne_u64_e32 vcc, v[14:15], v[8:9]
	s_and_b64 exec, exec, vcc
	s_cbranch_execz .LBB4_559
; %bb.557:                              ;   in Loop: Header=BB4_3 Depth=1
	s_mov_b64 s[0:1], 0
.LBB4_558:                              ;   Parent Loop BB4_3 Depth=1
                                        ; =>  This Inner Loop Header: Depth=2
	s_sleep 1
	global_store_dwordx2 v[4:5], v[14:15], off
	buffer_wbl2
	s_waitcnt vmcnt(0)
	global_atomic_cmpswap_x2 v[8:9], v43, v[12:15], s[2:3] offset:24 glc
	s_waitcnt vmcnt(0)
	v_cmp_eq_u64_e32 vcc, v[8:9], v[14:15]
	s_or_b64 s[0:1], vcc, s[0:1]
	v_pk_mov_b32 v[14:15], v[8:9], v[8:9] op_sel:[0,1]
	s_andn2_b64 exec, exec, s[0:1]
	s_cbranch_execnz .LBB4_558
.LBB4_559:                              ;   in Loop: Header=BB4_3 Depth=1
	s_or_b64 exec, exec, s[16:17]
	v_readfirstlane_b32 s0, v40
	v_cmp_eq_u32_e64 s[0:1], s0, v40
	v_pk_mov_b32 v[4:5], 0, 0
	s_and_saveexec_b64 s[14:15], s[0:1]
	s_cbranch_execz .LBB4_565
; %bb.560:                              ;   in Loop: Header=BB4_3 Depth=1
	global_load_dwordx2 v[14:15], v43, s[2:3] offset:24 glc
	s_waitcnt vmcnt(0)
	buffer_invl2
	buffer_wbinvl1_vol
	global_load_dwordx2 v[4:5], v43, s[2:3] offset:40
	global_load_dwordx2 v[8:9], v43, s[2:3]
	s_waitcnt vmcnt(1)
	v_and_b32_e32 v1, v4, v14
	v_and_b32_e32 v2, v5, v15
	v_mul_lo_u32 v2, v2, 24
	v_mul_hi_u32 v4, v1, 24
	v_mul_lo_u32 v1, v1, 24
	v_add_u32_e32 v2, v4, v2
	s_waitcnt vmcnt(0)
	v_add_co_u32_e32 v4, vcc, v8, v1
	v_addc_co_u32_e32 v5, vcc, v9, v2, vcc
	global_load_dwordx2 v[12:13], v[4:5], off glc
	s_waitcnt vmcnt(0)
	global_atomic_cmpswap_x2 v[4:5], v43, v[12:15], s[2:3] offset:24 glc
	s_waitcnt vmcnt(0)
	buffer_invl2
	buffer_wbinvl1_vol
	v_cmp_ne_u64_e32 vcc, v[4:5], v[14:15]
	s_and_saveexec_b64 s[16:17], vcc
	s_cbranch_execz .LBB4_564
; %bb.561:                              ;   in Loop: Header=BB4_3 Depth=1
	s_mov_b64 s[18:19], 0
.LBB4_562:                              ;   Parent Loop BB4_3 Depth=1
                                        ; =>  This Inner Loop Header: Depth=2
	s_sleep 1
	global_load_dwordx2 v[8:9], v43, s[2:3] offset:40
	global_load_dwordx2 v[12:13], v43, s[2:3]
	v_pk_mov_b32 v[14:15], v[4:5], v[4:5] op_sel:[0,1]
	s_waitcnt vmcnt(1)
	v_and_b32_e32 v2, v8, v14
	s_waitcnt vmcnt(0)
	v_mad_u64_u32 v[4:5], s[20:21], v2, 24, v[12:13]
	v_and_b32_e32 v1, v9, v15
	v_mov_b32_e32 v2, v5
	v_mad_u64_u32 v[8:9], s[20:21], v1, 24, v[2:3]
	v_mov_b32_e32 v5, v8
	global_load_dwordx2 v[12:13], v[4:5], off glc
	s_waitcnt vmcnt(0)
	global_atomic_cmpswap_x2 v[4:5], v43, v[12:15], s[2:3] offset:24 glc
	s_waitcnt vmcnt(0)
	buffer_invl2
	buffer_wbinvl1_vol
	v_cmp_eq_u64_e32 vcc, v[4:5], v[14:15]
	s_or_b64 s[18:19], vcc, s[18:19]
	s_andn2_b64 exec, exec, s[18:19]
	s_cbranch_execnz .LBB4_562
; %bb.563:                              ;   in Loop: Header=BB4_3 Depth=1
	s_or_b64 exec, exec, s[18:19]
.LBB4_564:                              ;   in Loop: Header=BB4_3 Depth=1
	s_or_b64 exec, exec, s[16:17]
.LBB4_565:                              ;   in Loop: Header=BB4_3 Depth=1
	s_or_b64 exec, exec, s[14:15]
	global_load_dwordx2 v[8:9], v43, s[2:3] offset:40
	global_load_dwordx4 v[12:15], v43, s[2:3]
	v_readfirstlane_b32 s14, v4
	v_readfirstlane_b32 s15, v5
	s_mov_b64 s[16:17], exec
	s_waitcnt vmcnt(1)
	v_readfirstlane_b32 s18, v8
	v_readfirstlane_b32 s19, v9
	s_and_b64 s[18:19], s[14:15], s[18:19]
	s_mul_i32 s20, s19, 24
	s_mul_hi_u32 s21, s18, 24
	s_mul_i32 s22, s18, 24
	s_add_i32 s20, s21, s20
	v_mov_b32_e32 v1, s20
	s_waitcnt vmcnt(0)
	v_add_co_u32_e32 v8, vcc, s22, v12
	v_addc_co_u32_e32 v9, vcc, v13, v1, vcc
	s_and_saveexec_b64 s[20:21], s[0:1]
	s_cbranch_execz .LBB4_567
; %bb.566:                              ;   in Loop: Header=BB4_3 Depth=1
	v_pk_mov_b32 v[4:5], s[16:17], s[16:17] op_sel:[0,1]
	global_store_dwordx4 v[8:9], v[4:7], off offset:8
.LBB4_567:                              ;   in Loop: Header=BB4_3 Depth=1
	s_or_b64 exec, exec, s[20:21]
	s_lshl_b64 s[16:17], s[18:19], 12
	v_mov_b32_e32 v1, s17
	v_add_co_u32_e32 v4, vcc, s16, v14
	v_addc_co_u32_e32 v5, vcc, v15, v1, vcc
	v_pk_mov_b32 v[20:21], s[10:11], s[10:11] op_sel:[0,1]
	v_mov_b32_e32 v1, v3
	v_mov_b32_e32 v2, v3
	v_readfirstlane_b32 s16, v4
	v_readfirstlane_b32 s17, v5
	v_pk_mov_b32 v[18:19], s[8:9], s[8:9] op_sel:[0,1]
	s_nop 3
	global_store_dwordx4 v45, v[0:3], s[16:17]
	global_store_dwordx4 v45, v[18:21], s[16:17] offset:16
	global_store_dwordx4 v45, v[18:21], s[16:17] offset:32
	;; [unrolled: 1-line block ×3, first 2 shown]
	s_and_saveexec_b64 s[16:17], s[0:1]
	s_cbranch_execz .LBB4_575
; %bb.568:                              ;   in Loop: Header=BB4_3 Depth=1
	global_load_dwordx2 v[22:23], v43, s[2:3] offset:32 glc
	global_load_dwordx2 v[14:15], v43, s[2:3] offset:40
	v_mov_b32_e32 v20, s14
	v_mov_b32_e32 v21, s15
	s_waitcnt vmcnt(0)
	v_readfirstlane_b32 s18, v14
	v_readfirstlane_b32 s19, v15
	s_and_b64 s[18:19], s[18:19], s[14:15]
	s_mul_i32 s19, s19, 24
	s_mul_hi_u32 s20, s18, 24
	s_mul_i32 s18, s18, 24
	s_add_i32 s19, s20, s19
	v_mov_b32_e32 v1, s19
	v_add_co_u32_e32 v18, vcc, s18, v12
	v_addc_co_u32_e32 v19, vcc, v13, v1, vcc
	global_store_dwordx2 v[18:19], v[22:23], off
	buffer_wbl2
	s_waitcnt vmcnt(0)
	global_atomic_cmpswap_x2 v[14:15], v43, v[20:23], s[2:3] offset:32 glc
	s_waitcnt vmcnt(0)
	v_cmp_ne_u64_e32 vcc, v[14:15], v[22:23]
	s_and_saveexec_b64 s[18:19], vcc
	s_cbranch_execz .LBB4_571
; %bb.569:                              ;   in Loop: Header=BB4_3 Depth=1
	s_mov_b64 s[20:21], 0
.LBB4_570:                              ;   Parent Loop BB4_3 Depth=1
                                        ; =>  This Inner Loop Header: Depth=2
	s_sleep 1
	global_store_dwordx2 v[18:19], v[14:15], off
	v_mov_b32_e32 v12, s14
	v_mov_b32_e32 v13, s15
	buffer_wbl2
	s_waitcnt vmcnt(0)
	global_atomic_cmpswap_x2 v[12:13], v43, v[12:15], s[2:3] offset:32 glc
	s_waitcnt vmcnt(0)
	v_cmp_eq_u64_e32 vcc, v[12:13], v[14:15]
	s_or_b64 s[20:21], vcc, s[20:21]
	v_pk_mov_b32 v[14:15], v[12:13], v[12:13] op_sel:[0,1]
	s_andn2_b64 exec, exec, s[20:21]
	s_cbranch_execnz .LBB4_570
.LBB4_571:                              ;   in Loop: Header=BB4_3 Depth=1
	s_or_b64 exec, exec, s[18:19]
	global_load_dwordx2 v[12:13], v43, s[2:3] offset:16
	s_mov_b64 s[20:21], exec
	v_mbcnt_lo_u32_b32 v1, s20, 0
	v_mbcnt_hi_u32_b32 v1, s21, v1
	v_cmp_eq_u32_e32 vcc, 0, v1
	s_and_saveexec_b64 s[18:19], vcc
	s_cbranch_execz .LBB4_573
; %bb.572:                              ;   in Loop: Header=BB4_3 Depth=1
	s_bcnt1_i32_b64 s20, s[20:21]
	v_mov_b32_e32 v2, s20
	buffer_wbl2
	s_waitcnt vmcnt(0)
	global_atomic_add_x2 v[12:13], v[2:3], off offset:8
.LBB4_573:                              ;   in Loop: Header=BB4_3 Depth=1
	s_or_b64 exec, exec, s[18:19]
	s_waitcnt vmcnt(0)
	global_load_dwordx2 v[14:15], v[12:13], off offset:16
	s_waitcnt vmcnt(0)
	v_cmp_eq_u64_e32 vcc, 0, v[14:15]
	s_cbranch_vccnz .LBB4_575
; %bb.574:                              ;   in Loop: Header=BB4_3 Depth=1
	global_load_dword v42, v[12:13], off offset:24
	s_waitcnt vmcnt(0)
	v_and_b32_e32 v1, 0xffffff, v42
	v_readfirstlane_b32 m0, v1
	buffer_wbl2
	global_store_dwordx2 v[14:15], v[42:43], off
	s_sendmsg sendmsg(MSG_INTERRUPT)
.LBB4_575:                              ;   in Loop: Header=BB4_3 Depth=1
	s_or_b64 exec, exec, s[16:17]
	v_add_co_u32_e32 v4, vcc, v4, v45
	v_addc_co_u32_e32 v5, vcc, 0, v5, vcc
	s_branch .LBB4_579
.LBB4_576:                              ;   in Loop: Header=BB4_579 Depth=2
	s_or_b64 exec, exec, s[16:17]
	v_readfirstlane_b32 s16, v1
	s_cmp_eq_u32 s16, 0
	s_cbranch_scc1 .LBB4_578
; %bb.577:                              ;   in Loop: Header=BB4_579 Depth=2
	s_sleep 1
	s_cbranch_execnz .LBB4_579
	s_branch .LBB4_581
.LBB4_578:                              ;   in Loop: Header=BB4_3 Depth=1
	s_branch .LBB4_581
.LBB4_579:                              ;   Parent Loop BB4_3 Depth=1
                                        ; =>  This Inner Loop Header: Depth=2
	v_mov_b32_e32 v1, 1
	s_and_saveexec_b64 s[16:17], s[0:1]
	s_cbranch_execz .LBB4_576
; %bb.580:                              ;   in Loop: Header=BB4_579 Depth=2
	global_load_dword v1, v[8:9], off offset:20 glc
	s_waitcnt vmcnt(0)
	buffer_invl2
	buffer_wbinvl1_vol
	v_and_b32_e32 v1, 1, v1
	s_branch .LBB4_576
.LBB4_581:                              ;   in Loop: Header=BB4_3 Depth=1
	global_load_dwordx2 v[12:13], v[4:5], off
	s_and_saveexec_b64 s[16:17], s[0:1]
	s_cbranch_execz .LBB4_585
; %bb.582:                              ;   in Loop: Header=BB4_3 Depth=1
	global_load_dwordx2 v[4:5], v43, s[2:3] offset:40
	global_load_dwordx2 v[8:9], v43, s[2:3] offset:24 glc
	global_load_dwordx2 v[14:15], v43, s[2:3]
	v_mov_b32_e32 v1, s15
	s_waitcnt vmcnt(2)
	v_add_co_u32_e32 v2, vcc, 1, v4
	v_addc_co_u32_e32 v11, vcc, 0, v5, vcc
	v_add_co_u32_e32 v18, vcc, s14, v2
	v_addc_co_u32_e32 v19, vcc, v11, v1, vcc
	v_cmp_eq_u64_e32 vcc, 0, v[18:19]
	v_cndmask_b32_e32 v19, v19, v11, vcc
	v_cndmask_b32_e32 v18, v18, v2, vcc
	v_and_b32_e32 v1, v19, v5
	v_and_b32_e32 v2, v18, v4
	v_mul_lo_u32 v1, v1, 24
	v_mul_hi_u32 v4, v2, 24
	v_mul_lo_u32 v2, v2, 24
	v_add_u32_e32 v1, v4, v1
	s_waitcnt vmcnt(0)
	v_add_co_u32_e32 v4, vcc, v14, v2
	v_addc_co_u32_e32 v5, vcc, v15, v1, vcc
	v_mov_b32_e32 v20, v8
	global_store_dwordx2 v[4:5], v[8:9], off
	v_mov_b32_e32 v21, v9
	buffer_wbl2
	s_waitcnt vmcnt(0)
	global_atomic_cmpswap_x2 v[20:21], v43, v[18:21], s[2:3] offset:24 glc
	s_waitcnt vmcnt(0)
	v_cmp_ne_u64_e32 vcc, v[20:21], v[8:9]
	s_and_b64 exec, exec, vcc
	s_cbranch_execz .LBB4_585
; %bb.583:                              ;   in Loop: Header=BB4_3 Depth=1
	s_mov_b64 s[0:1], 0
.LBB4_584:                              ;   Parent Loop BB4_3 Depth=1
                                        ; =>  This Inner Loop Header: Depth=2
	s_sleep 1
	global_store_dwordx2 v[4:5], v[20:21], off
	buffer_wbl2
	s_waitcnt vmcnt(0)
	global_atomic_cmpswap_x2 v[8:9], v43, v[18:21], s[2:3] offset:24 glc
	s_waitcnt vmcnt(0)
	v_cmp_eq_u64_e32 vcc, v[8:9], v[20:21]
	s_or_b64 s[0:1], vcc, s[0:1]
	v_pk_mov_b32 v[20:21], v[8:9], v[8:9] op_sel:[0,1]
	s_andn2_b64 exec, exec, s[0:1]
	s_cbranch_execnz .LBB4_584
.LBB4_585:                              ;   in Loop: Header=BB4_3 Depth=1
	s_or_b64 exec, exec, s[16:17]
	s_and_b64 vcc, exec, s[6:7]
	s_cbranch_vccz .LBB4_755
; %bb.586:                              ;   in Loop: Header=BB4_3 Depth=1
	s_waitcnt vmcnt(0)
	v_and_b32_e32 v8, 2, v12
	v_and_b32_e32 v18, -3, v12
	v_mov_b32_e32 v19, v13
	s_mov_b64 s[16:17], 6
	s_getpc_b64 s[14:15]
	s_add_u32 s14, s14, .str.7@rel32@lo+4
	s_addc_u32 s15, s15, .str.7@rel32@hi+12
	s_branch .LBB4_588
.LBB4_587:                              ;   in Loop: Header=BB4_588 Depth=2
	s_or_b64 exec, exec, s[22:23]
	s_sub_u32 s16, s16, s18
	s_subb_u32 s17, s17, s19
	s_add_u32 s14, s14, s18
	s_addc_u32 s15, s15, s19
	s_cmp_lg_u64 s[16:17], 0
	s_cbranch_scc0 .LBB4_669
.LBB4_588:                              ;   Parent Loop BB4_3 Depth=1
                                        ; =>  This Loop Header: Depth=2
                                        ;       Child Loop BB4_591 Depth 3
                                        ;       Child Loop BB4_598 Depth 3
                                        ;       Child Loop BB4_606 Depth 3
                                        ;       Child Loop BB4_614 Depth 3
                                        ;       Child Loop BB4_622 Depth 3
                                        ;       Child Loop BB4_630 Depth 3
                                        ;       Child Loop BB4_638 Depth 3
                                        ;       Child Loop BB4_646 Depth 3
                                        ;       Child Loop BB4_654 Depth 3
                                        ;       Child Loop BB4_663 Depth 3
                                        ;       Child Loop BB4_668 Depth 3
	v_cmp_lt_u64_e64 s[0:1], s[16:17], 56
	s_and_b64 s[0:1], s[0:1], exec
	v_cmp_gt_u64_e64 s[0:1], s[16:17], 7
	s_cselect_b32 s19, s17, 0
	s_cselect_b32 s18, s16, 56
	s_and_b64 vcc, exec, s[0:1]
	s_cbranch_vccnz .LBB4_593
; %bb.589:                              ;   in Loop: Header=BB4_588 Depth=2
	s_mov_b64 s[0:1], 0
	s_cmp_eq_u64 s[16:17], 0
	s_waitcnt vmcnt(0)
	v_pk_mov_b32 v[20:21], 0, 0
	s_cbranch_scc1 .LBB4_592
; %bb.590:                              ;   in Loop: Header=BB4_588 Depth=2
	s_lshl_b64 s[20:21], s[18:19], 3
	s_mov_b64 s[22:23], 0
	v_pk_mov_b32 v[20:21], 0, 0
	s_mov_b64 s[24:25], s[14:15]
.LBB4_591:                              ;   Parent Loop BB4_3 Depth=1
                                        ;     Parent Loop BB4_588 Depth=2
                                        ; =>    This Inner Loop Header: Depth=3
	global_load_ubyte v1, v43, s[24:25]
	s_waitcnt vmcnt(0)
	v_and_b32_e32 v42, 0xffff, v1
	v_lshlrev_b64 v[4:5], s22, v[42:43]
	s_add_u32 s22, s22, 8
	s_addc_u32 s23, s23, 0
	s_add_u32 s24, s24, 1
	s_addc_u32 s25, s25, 0
	v_or_b32_e32 v20, v4, v20
	s_cmp_lg_u32 s20, s22
	v_or_b32_e32 v21, v5, v21
	s_cbranch_scc1 .LBB4_591
.LBB4_592:                              ;   in Loop: Header=BB4_588 Depth=2
	s_mov_b32 s24, 0
	s_andn2_b64 vcc, exec, s[0:1]
	s_mov_b64 s[0:1], s[14:15]
	s_cbranch_vccz .LBB4_594
	s_branch .LBB4_595
.LBB4_593:                              ;   in Loop: Header=BB4_588 Depth=2
                                        ; implicit-def: $vgpr20_vgpr21
                                        ; implicit-def: $sgpr24
	s_mov_b64 s[0:1], s[14:15]
.LBB4_594:                              ;   in Loop: Header=BB4_588 Depth=2
	global_load_dwordx2 v[20:21], v43, s[14:15]
	s_add_i32 s24, s18, -8
	s_add_u32 s0, s14, 8
	s_addc_u32 s1, s15, 0
.LBB4_595:                              ;   in Loop: Header=BB4_588 Depth=2
	s_cmp_gt_u32 s24, 7
	s_cbranch_scc1 .LBB4_599
; %bb.596:                              ;   in Loop: Header=BB4_588 Depth=2
	s_cmp_eq_u32 s24, 0
	s_cbranch_scc1 .LBB4_600
; %bb.597:                              ;   in Loop: Header=BB4_588 Depth=2
	s_mov_b64 s[20:21], 0
	v_pk_mov_b32 v[22:23], 0, 0
	s_mov_b64 s[22:23], 0
.LBB4_598:                              ;   Parent Loop BB4_3 Depth=1
                                        ;     Parent Loop BB4_588 Depth=2
                                        ; =>    This Inner Loop Header: Depth=3
	s_add_u32 s26, s0, s22
	s_addc_u32 s27, s1, s23
	global_load_ubyte v1, v43, s[26:27]
	s_add_u32 s22, s22, 1
	s_addc_u32 s23, s23, 0
	s_waitcnt vmcnt(0)
	v_and_b32_e32 v42, 0xffff, v1
	v_lshlrev_b64 v[4:5], s20, v[42:43]
	s_add_u32 s20, s20, 8
	s_addc_u32 s21, s21, 0
	v_or_b32_e32 v22, v4, v22
	s_cmp_lg_u32 s24, s22
	v_or_b32_e32 v23, v5, v23
	s_cbranch_scc1 .LBB4_598
	s_branch .LBB4_601
.LBB4_599:                              ;   in Loop: Header=BB4_588 Depth=2
                                        ; implicit-def: $vgpr22_vgpr23
                                        ; implicit-def: $sgpr25
	s_branch .LBB4_602
.LBB4_600:                              ;   in Loop: Header=BB4_588 Depth=2
	v_pk_mov_b32 v[22:23], 0, 0
.LBB4_601:                              ;   in Loop: Header=BB4_588 Depth=2
	s_mov_b32 s25, 0
	s_cbranch_execnz .LBB4_603
.LBB4_602:                              ;   in Loop: Header=BB4_588 Depth=2
	global_load_dwordx2 v[22:23], v43, s[0:1]
	s_add_i32 s25, s24, -8
	s_add_u32 s0, s0, 8
	s_addc_u32 s1, s1, 0
.LBB4_603:                              ;   in Loop: Header=BB4_588 Depth=2
	s_cmp_gt_u32 s25, 7
	s_cbranch_scc1 .LBB4_607
; %bb.604:                              ;   in Loop: Header=BB4_588 Depth=2
	s_cmp_eq_u32 s25, 0
	s_cbranch_scc1 .LBB4_608
; %bb.605:                              ;   in Loop: Header=BB4_588 Depth=2
	s_mov_b64 s[20:21], 0
	v_pk_mov_b32 v[24:25], 0, 0
	s_mov_b64 s[22:23], 0
.LBB4_606:                              ;   Parent Loop BB4_3 Depth=1
                                        ;     Parent Loop BB4_588 Depth=2
                                        ; =>    This Inner Loop Header: Depth=3
	s_add_u32 s26, s0, s22
	s_addc_u32 s27, s1, s23
	global_load_ubyte v1, v43, s[26:27]
	s_add_u32 s22, s22, 1
	s_addc_u32 s23, s23, 0
	s_waitcnt vmcnt(0)
	v_and_b32_e32 v42, 0xffff, v1
	v_lshlrev_b64 v[4:5], s20, v[42:43]
	s_add_u32 s20, s20, 8
	s_addc_u32 s21, s21, 0
	v_or_b32_e32 v24, v4, v24
	s_cmp_lg_u32 s25, s22
	v_or_b32_e32 v25, v5, v25
	s_cbranch_scc1 .LBB4_606
	s_branch .LBB4_609
.LBB4_607:                              ;   in Loop: Header=BB4_588 Depth=2
                                        ; implicit-def: $sgpr24
	s_branch .LBB4_610
.LBB4_608:                              ;   in Loop: Header=BB4_588 Depth=2
	v_pk_mov_b32 v[24:25], 0, 0
.LBB4_609:                              ;   in Loop: Header=BB4_588 Depth=2
	s_mov_b32 s24, 0
	s_cbranch_execnz .LBB4_611
.LBB4_610:                              ;   in Loop: Header=BB4_588 Depth=2
	global_load_dwordx2 v[24:25], v43, s[0:1]
	s_add_i32 s24, s25, -8
	s_add_u32 s0, s0, 8
	s_addc_u32 s1, s1, 0
.LBB4_611:                              ;   in Loop: Header=BB4_588 Depth=2
	s_cmp_gt_u32 s24, 7
	s_cbranch_scc1 .LBB4_615
; %bb.612:                              ;   in Loop: Header=BB4_588 Depth=2
	s_cmp_eq_u32 s24, 0
	s_cbranch_scc1 .LBB4_616
; %bb.613:                              ;   in Loop: Header=BB4_588 Depth=2
	s_mov_b64 s[20:21], 0
	v_pk_mov_b32 v[26:27], 0, 0
	s_mov_b64 s[22:23], 0
.LBB4_614:                              ;   Parent Loop BB4_3 Depth=1
                                        ;     Parent Loop BB4_588 Depth=2
                                        ; =>    This Inner Loop Header: Depth=3
	s_add_u32 s26, s0, s22
	s_addc_u32 s27, s1, s23
	global_load_ubyte v1, v43, s[26:27]
	s_add_u32 s22, s22, 1
	s_addc_u32 s23, s23, 0
	s_waitcnt vmcnt(0)
	v_and_b32_e32 v42, 0xffff, v1
	v_lshlrev_b64 v[4:5], s20, v[42:43]
	s_add_u32 s20, s20, 8
	s_addc_u32 s21, s21, 0
	v_or_b32_e32 v26, v4, v26
	s_cmp_lg_u32 s24, s22
	v_or_b32_e32 v27, v5, v27
	s_cbranch_scc1 .LBB4_614
	s_branch .LBB4_617
.LBB4_615:                              ;   in Loop: Header=BB4_588 Depth=2
                                        ; implicit-def: $vgpr26_vgpr27
                                        ; implicit-def: $sgpr25
	s_branch .LBB4_618
.LBB4_616:                              ;   in Loop: Header=BB4_588 Depth=2
	v_pk_mov_b32 v[26:27], 0, 0
.LBB4_617:                              ;   in Loop: Header=BB4_588 Depth=2
	s_mov_b32 s25, 0
	s_cbranch_execnz .LBB4_619
.LBB4_618:                              ;   in Loop: Header=BB4_588 Depth=2
	global_load_dwordx2 v[26:27], v43, s[0:1]
	s_add_i32 s25, s24, -8
	s_add_u32 s0, s0, 8
	s_addc_u32 s1, s1, 0
.LBB4_619:                              ;   in Loop: Header=BB4_588 Depth=2
	s_cmp_gt_u32 s25, 7
	s_cbranch_scc1 .LBB4_623
; %bb.620:                              ;   in Loop: Header=BB4_588 Depth=2
	s_cmp_eq_u32 s25, 0
	s_cbranch_scc1 .LBB4_624
; %bb.621:                              ;   in Loop: Header=BB4_588 Depth=2
	s_mov_b64 s[20:21], 0
	v_pk_mov_b32 v[28:29], 0, 0
	s_mov_b64 s[22:23], 0
.LBB4_622:                              ;   Parent Loop BB4_3 Depth=1
                                        ;     Parent Loop BB4_588 Depth=2
                                        ; =>    This Inner Loop Header: Depth=3
	s_add_u32 s26, s0, s22
	s_addc_u32 s27, s1, s23
	global_load_ubyte v1, v43, s[26:27]
	s_add_u32 s22, s22, 1
	s_addc_u32 s23, s23, 0
	s_waitcnt vmcnt(0)
	v_and_b32_e32 v42, 0xffff, v1
	v_lshlrev_b64 v[4:5], s20, v[42:43]
	s_add_u32 s20, s20, 8
	s_addc_u32 s21, s21, 0
	v_or_b32_e32 v28, v4, v28
	s_cmp_lg_u32 s25, s22
	v_or_b32_e32 v29, v5, v29
	s_cbranch_scc1 .LBB4_622
	s_branch .LBB4_625
.LBB4_623:                              ;   in Loop: Header=BB4_588 Depth=2
                                        ; implicit-def: $sgpr24
	s_branch .LBB4_626
.LBB4_624:                              ;   in Loop: Header=BB4_588 Depth=2
	v_pk_mov_b32 v[28:29], 0, 0
.LBB4_625:                              ;   in Loop: Header=BB4_588 Depth=2
	s_mov_b32 s24, 0
	s_cbranch_execnz .LBB4_627
.LBB4_626:                              ;   in Loop: Header=BB4_588 Depth=2
	global_load_dwordx2 v[28:29], v43, s[0:1]
	s_add_i32 s24, s25, -8
	s_add_u32 s0, s0, 8
	s_addc_u32 s1, s1, 0
.LBB4_627:                              ;   in Loop: Header=BB4_588 Depth=2
	s_cmp_gt_u32 s24, 7
	s_cbranch_scc1 .LBB4_631
; %bb.628:                              ;   in Loop: Header=BB4_588 Depth=2
	s_cmp_eq_u32 s24, 0
	s_cbranch_scc1 .LBB4_632
; %bb.629:                              ;   in Loop: Header=BB4_588 Depth=2
	s_mov_b64 s[20:21], 0
	v_pk_mov_b32 v[30:31], 0, 0
	s_mov_b64 s[22:23], 0
.LBB4_630:                              ;   Parent Loop BB4_3 Depth=1
                                        ;     Parent Loop BB4_588 Depth=2
                                        ; =>    This Inner Loop Header: Depth=3
	s_add_u32 s26, s0, s22
	s_addc_u32 s27, s1, s23
	global_load_ubyte v1, v43, s[26:27]
	s_add_u32 s22, s22, 1
	s_addc_u32 s23, s23, 0
	s_waitcnt vmcnt(0)
	v_and_b32_e32 v42, 0xffff, v1
	v_lshlrev_b64 v[4:5], s20, v[42:43]
	s_add_u32 s20, s20, 8
	s_addc_u32 s21, s21, 0
	v_or_b32_e32 v30, v4, v30
	s_cmp_lg_u32 s24, s22
	v_or_b32_e32 v31, v5, v31
	s_cbranch_scc1 .LBB4_630
	s_branch .LBB4_633
.LBB4_631:                              ;   in Loop: Header=BB4_588 Depth=2
                                        ; implicit-def: $vgpr30_vgpr31
                                        ; implicit-def: $sgpr25
	s_branch .LBB4_634
.LBB4_632:                              ;   in Loop: Header=BB4_588 Depth=2
	v_pk_mov_b32 v[30:31], 0, 0
.LBB4_633:                              ;   in Loop: Header=BB4_588 Depth=2
	s_mov_b32 s25, 0
	s_cbranch_execnz .LBB4_635
.LBB4_634:                              ;   in Loop: Header=BB4_588 Depth=2
	global_load_dwordx2 v[30:31], v43, s[0:1]
	s_add_i32 s25, s24, -8
	s_add_u32 s0, s0, 8
	s_addc_u32 s1, s1, 0
.LBB4_635:                              ;   in Loop: Header=BB4_588 Depth=2
	s_cmp_gt_u32 s25, 7
	s_cbranch_scc1 .LBB4_639
; %bb.636:                              ;   in Loop: Header=BB4_588 Depth=2
	s_cmp_eq_u32 s25, 0
	s_cbranch_scc1 .LBB4_640
; %bb.637:                              ;   in Loop: Header=BB4_588 Depth=2
	s_mov_b64 s[20:21], 0
	v_pk_mov_b32 v[32:33], 0, 0
	s_mov_b64 s[22:23], s[0:1]
.LBB4_638:                              ;   Parent Loop BB4_3 Depth=1
                                        ;     Parent Loop BB4_588 Depth=2
                                        ; =>    This Inner Loop Header: Depth=3
	global_load_ubyte v1, v43, s[22:23]
	s_add_i32 s25, s25, -1
	s_waitcnt vmcnt(0)
	v_and_b32_e32 v42, 0xffff, v1
	v_lshlrev_b64 v[4:5], s20, v[42:43]
	s_add_u32 s20, s20, 8
	s_addc_u32 s21, s21, 0
	s_add_u32 s22, s22, 1
	s_addc_u32 s23, s23, 0
	v_or_b32_e32 v32, v4, v32
	s_cmp_lg_u32 s25, 0
	v_or_b32_e32 v33, v5, v33
	s_cbranch_scc1 .LBB4_638
	s_branch .LBB4_641
.LBB4_639:                              ;   in Loop: Header=BB4_588 Depth=2
	s_branch .LBB4_642
.LBB4_640:                              ;   in Loop: Header=BB4_588 Depth=2
	v_pk_mov_b32 v[32:33], 0, 0
.LBB4_641:                              ;   in Loop: Header=BB4_588 Depth=2
	s_cbranch_execnz .LBB4_643
.LBB4_642:                              ;   in Loop: Header=BB4_588 Depth=2
	global_load_dwordx2 v[32:33], v43, s[0:1]
.LBB4_643:                              ;   in Loop: Header=BB4_588 Depth=2
	v_readfirstlane_b32 s0, v40
	v_cmp_eq_u32_e64 s[0:1], s0, v40
	v_pk_mov_b32 v[4:5], 0, 0
	s_and_saveexec_b64 s[20:21], s[0:1]
	s_cbranch_execz .LBB4_649
; %bb.644:                              ;   in Loop: Header=BB4_588 Depth=2
	global_load_dwordx2 v[36:37], v43, s[2:3] offset:24 glc
	s_waitcnt vmcnt(0)
	buffer_invl2
	buffer_wbinvl1_vol
	global_load_dwordx2 v[4:5], v43, s[2:3] offset:40
	global_load_dwordx2 v[14:15], v43, s[2:3]
	s_waitcnt vmcnt(1)
	v_and_b32_e32 v1, v4, v36
	v_and_b32_e32 v2, v5, v37
	v_mul_lo_u32 v2, v2, 24
	v_mul_hi_u32 v4, v1, 24
	v_mul_lo_u32 v1, v1, 24
	v_add_u32_e32 v2, v4, v2
	s_waitcnt vmcnt(0)
	v_add_co_u32_e32 v4, vcc, v14, v1
	v_addc_co_u32_e32 v5, vcc, v15, v2, vcc
	global_load_dwordx2 v[34:35], v[4:5], off glc
	s_waitcnt vmcnt(0)
	global_atomic_cmpswap_x2 v[4:5], v43, v[34:37], s[2:3] offset:24 glc
	s_waitcnt vmcnt(0)
	buffer_invl2
	buffer_wbinvl1_vol
	v_cmp_ne_u64_e32 vcc, v[4:5], v[36:37]
	s_and_saveexec_b64 s[22:23], vcc
	s_cbranch_execz .LBB4_648
; %bb.645:                              ;   in Loop: Header=BB4_588 Depth=2
	s_mov_b64 s[24:25], 0
.LBB4_646:                              ;   Parent Loop BB4_3 Depth=1
                                        ;     Parent Loop BB4_588 Depth=2
                                        ; =>    This Inner Loop Header: Depth=3
	s_sleep 1
	global_load_dwordx2 v[14:15], v43, s[2:3] offset:40
	global_load_dwordx2 v[34:35], v43, s[2:3]
	v_pk_mov_b32 v[36:37], v[4:5], v[4:5] op_sel:[0,1]
	s_waitcnt vmcnt(1)
	v_and_b32_e32 v2, v14, v36
	s_waitcnt vmcnt(0)
	v_mad_u64_u32 v[4:5], s[26:27], v2, 24, v[34:35]
	v_and_b32_e32 v1, v15, v37
	v_mov_b32_e32 v2, v5
	v_mad_u64_u32 v[14:15], s[26:27], v1, 24, v[2:3]
	v_mov_b32_e32 v5, v14
	global_load_dwordx2 v[34:35], v[4:5], off glc
	s_waitcnt vmcnt(0)
	global_atomic_cmpswap_x2 v[4:5], v43, v[34:37], s[2:3] offset:24 glc
	s_waitcnt vmcnt(0)
	buffer_invl2
	buffer_wbinvl1_vol
	v_cmp_eq_u64_e32 vcc, v[4:5], v[36:37]
	s_or_b64 s[24:25], vcc, s[24:25]
	s_andn2_b64 exec, exec, s[24:25]
	s_cbranch_execnz .LBB4_646
; %bb.647:                              ;   in Loop: Header=BB4_588 Depth=2
	s_or_b64 exec, exec, s[24:25]
.LBB4_648:                              ;   in Loop: Header=BB4_588 Depth=2
	s_or_b64 exec, exec, s[22:23]
.LBB4_649:                              ;   in Loop: Header=BB4_588 Depth=2
	s_or_b64 exec, exec, s[20:21]
	global_load_dwordx2 v[14:15], v43, s[2:3] offset:40
	global_load_dwordx4 v[34:37], v43, s[2:3]
	v_readfirstlane_b32 s20, v4
	v_readfirstlane_b32 s21, v5
	s_mov_b64 s[22:23], exec
	s_waitcnt vmcnt(1)
	v_readfirstlane_b32 s24, v14
	v_readfirstlane_b32 s25, v15
	s_and_b64 s[24:25], s[20:21], s[24:25]
	s_mul_i32 s26, s25, 24
	s_mul_hi_u32 s27, s24, 24
	s_mul_i32 s33, s24, 24
	s_add_i32 s26, s27, s26
	v_mov_b32_e32 v1, s26
	s_waitcnt vmcnt(0)
	v_add_co_u32_e32 v14, vcc, s33, v34
	v_addc_co_u32_e32 v15, vcc, v35, v1, vcc
	s_and_saveexec_b64 s[26:27], s[0:1]
	s_cbranch_execz .LBB4_651
; %bb.650:                              ;   in Loop: Header=BB4_588 Depth=2
	v_pk_mov_b32 v[4:5], s[22:23], s[22:23] op_sel:[0,1]
	global_store_dwordx4 v[14:15], v[4:7], off offset:8
.LBB4_651:                              ;   in Loop: Header=BB4_588 Depth=2
	s_or_b64 exec, exec, s[26:27]
	s_lshl_b64 s[22:23], s[24:25], 12
	v_mov_b32_e32 v1, s23
	v_add_co_u32_e32 v4, vcc, s22, v36
	v_addc_co_u32_e32 v1, vcc, v37, v1, vcc
	v_or_b32_e32 v2, 0, v19
	v_or_b32_e32 v5, v18, v8
	v_cmp_gt_u64_e64 vcc, s[16:17], 56
	s_lshl_b32 s22, s18, 2
	v_cndmask_b32_e32 v19, v2, v19, vcc
	v_cndmask_b32_e32 v2, v5, v18, vcc
	s_add_i32 s22, s22, 28
	s_and_b32 s22, s22, 0x1e0
	v_and_b32_e32 v2, 0xffffff1f, v2
	v_or_b32_e32 v18, s22, v2
	v_readfirstlane_b32 s22, v4
	v_readfirstlane_b32 s23, v1
	s_nop 4
	global_store_dwordx4 v45, v[18:21], s[22:23]
	global_store_dwordx4 v45, v[22:25], s[22:23] offset:16
	global_store_dwordx4 v45, v[26:29], s[22:23] offset:32
	global_store_dwordx4 v45, v[30:33], s[22:23] offset:48
	s_and_saveexec_b64 s[22:23], s[0:1]
	s_cbranch_execz .LBB4_659
; %bb.652:                              ;   in Loop: Header=BB4_588 Depth=2
	global_load_dwordx2 v[26:27], v43, s[2:3] offset:32 glc
	global_load_dwordx2 v[18:19], v43, s[2:3] offset:40
	v_mov_b32_e32 v24, s20
	v_mov_b32_e32 v25, s21
	s_waitcnt vmcnt(0)
	v_readfirstlane_b32 s24, v18
	v_readfirstlane_b32 s25, v19
	s_and_b64 s[24:25], s[24:25], s[20:21]
	s_mul_i32 s25, s25, 24
	s_mul_hi_u32 s26, s24, 24
	s_mul_i32 s24, s24, 24
	s_add_i32 s25, s26, s25
	v_mov_b32_e32 v2, s25
	v_add_co_u32_e32 v22, vcc, s24, v34
	v_addc_co_u32_e32 v23, vcc, v35, v2, vcc
	global_store_dwordx2 v[22:23], v[26:27], off
	buffer_wbl2
	s_waitcnt vmcnt(0)
	global_atomic_cmpswap_x2 v[20:21], v43, v[24:27], s[2:3] offset:32 glc
	s_waitcnt vmcnt(0)
	v_cmp_ne_u64_e32 vcc, v[20:21], v[26:27]
	s_and_saveexec_b64 s[24:25], vcc
	s_cbranch_execz .LBB4_655
; %bb.653:                              ;   in Loop: Header=BB4_588 Depth=2
	s_mov_b64 s[26:27], 0
.LBB4_654:                              ;   Parent Loop BB4_3 Depth=1
                                        ;     Parent Loop BB4_588 Depth=2
                                        ; =>    This Inner Loop Header: Depth=3
	s_sleep 1
	global_store_dwordx2 v[22:23], v[20:21], off
	v_mov_b32_e32 v18, s20
	v_mov_b32_e32 v19, s21
	buffer_wbl2
	s_waitcnt vmcnt(0)
	global_atomic_cmpswap_x2 v[18:19], v43, v[18:21], s[2:3] offset:32 glc
	s_waitcnt vmcnt(0)
	v_cmp_eq_u64_e32 vcc, v[18:19], v[20:21]
	s_or_b64 s[26:27], vcc, s[26:27]
	v_pk_mov_b32 v[20:21], v[18:19], v[18:19] op_sel:[0,1]
	s_andn2_b64 exec, exec, s[26:27]
	s_cbranch_execnz .LBB4_654
.LBB4_655:                              ;   in Loop: Header=BB4_588 Depth=2
	s_or_b64 exec, exec, s[24:25]
	global_load_dwordx2 v[18:19], v43, s[2:3] offset:16
	s_mov_b64 s[26:27], exec
	v_mbcnt_lo_u32_b32 v2, s26, 0
	v_mbcnt_hi_u32_b32 v2, s27, v2
	v_cmp_eq_u32_e32 vcc, 0, v2
	s_and_saveexec_b64 s[24:25], vcc
	s_cbranch_execz .LBB4_657
; %bb.656:                              ;   in Loop: Header=BB4_588 Depth=2
	s_bcnt1_i32_b64 s26, s[26:27]
	v_mov_b32_e32 v2, s26
	buffer_wbl2
	s_waitcnt vmcnt(0)
	global_atomic_add_x2 v[18:19], v[2:3], off offset:8
.LBB4_657:                              ;   in Loop: Header=BB4_588 Depth=2
	s_or_b64 exec, exec, s[24:25]
	s_waitcnt vmcnt(0)
	global_load_dwordx2 v[20:21], v[18:19], off offset:16
	s_waitcnt vmcnt(0)
	v_cmp_eq_u64_e32 vcc, 0, v[20:21]
	s_cbranch_vccnz .LBB4_659
; %bb.658:                              ;   in Loop: Header=BB4_588 Depth=2
	global_load_dword v42, v[18:19], off offset:24
	s_waitcnt vmcnt(0)
	v_and_b32_e32 v2, 0xffffff, v42
	v_readfirstlane_b32 m0, v2
	buffer_wbl2
	global_store_dwordx2 v[20:21], v[42:43], off
	s_sendmsg sendmsg(MSG_INTERRUPT)
.LBB4_659:                              ;   in Loop: Header=BB4_588 Depth=2
	s_or_b64 exec, exec, s[22:23]
	v_add_co_u32_e32 v4, vcc, v4, v45
	v_addc_co_u32_e32 v5, vcc, 0, v1, vcc
	s_branch .LBB4_663
.LBB4_660:                              ;   in Loop: Header=BB4_663 Depth=3
	s_or_b64 exec, exec, s[22:23]
	v_readfirstlane_b32 s22, v1
	s_cmp_eq_u32 s22, 0
	s_cbranch_scc1 .LBB4_662
; %bb.661:                              ;   in Loop: Header=BB4_663 Depth=3
	s_sleep 1
	s_cbranch_execnz .LBB4_663
	s_branch .LBB4_665
.LBB4_662:                              ;   in Loop: Header=BB4_588 Depth=2
	s_branch .LBB4_665
.LBB4_663:                              ;   Parent Loop BB4_3 Depth=1
                                        ;     Parent Loop BB4_588 Depth=2
                                        ; =>    This Inner Loop Header: Depth=3
	v_mov_b32_e32 v1, 1
	s_and_saveexec_b64 s[22:23], s[0:1]
	s_cbranch_execz .LBB4_660
; %bb.664:                              ;   in Loop: Header=BB4_663 Depth=3
	global_load_dword v1, v[14:15], off offset:20 glc
	s_waitcnt vmcnt(0)
	buffer_invl2
	buffer_wbinvl1_vol
	v_and_b32_e32 v1, 1, v1
	s_branch .LBB4_660
.LBB4_665:                              ;   in Loop: Header=BB4_588 Depth=2
	global_load_dwordx4 v[18:21], v[4:5], off
	s_and_saveexec_b64 s[22:23], s[0:1]
	s_cbranch_execz .LBB4_587
; %bb.666:                              ;   in Loop: Header=BB4_588 Depth=2
	global_load_dwordx2 v[4:5], v43, s[2:3] offset:40
	global_load_dwordx2 v[14:15], v43, s[2:3] offset:24 glc
	global_load_dwordx2 v[24:25], v43, s[2:3]
	v_mov_b32_e32 v1, s21
	s_waitcnt vmcnt(2)
	v_add_co_u32_e32 v2, vcc, 1, v4
	v_addc_co_u32_e32 v9, vcc, 0, v5, vcc
	v_add_co_u32_e32 v20, vcc, s20, v2
	v_addc_co_u32_e32 v21, vcc, v9, v1, vcc
	v_cmp_eq_u64_e32 vcc, 0, v[20:21]
	v_cndmask_b32_e32 v21, v21, v9, vcc
	v_cndmask_b32_e32 v20, v20, v2, vcc
	v_and_b32_e32 v1, v21, v5
	v_and_b32_e32 v2, v20, v4
	v_mul_lo_u32 v1, v1, 24
	v_mul_hi_u32 v4, v2, 24
	v_mul_lo_u32 v2, v2, 24
	v_add_u32_e32 v1, v4, v1
	s_waitcnt vmcnt(0)
	v_add_co_u32_e32 v4, vcc, v24, v2
	v_addc_co_u32_e32 v5, vcc, v25, v1, vcc
	v_mov_b32_e32 v22, v14
	global_store_dwordx2 v[4:5], v[14:15], off
	v_mov_b32_e32 v23, v15
	buffer_wbl2
	s_waitcnt vmcnt(0)
	global_atomic_cmpswap_x2 v[22:23], v43, v[20:23], s[2:3] offset:24 glc
	s_waitcnt vmcnt(0)
	v_cmp_ne_u64_e32 vcc, v[22:23], v[14:15]
	s_and_b64 exec, exec, vcc
	s_cbranch_execz .LBB4_587
; %bb.667:                              ;   in Loop: Header=BB4_588 Depth=2
	s_mov_b64 s[0:1], 0
.LBB4_668:                              ;   Parent Loop BB4_3 Depth=1
                                        ;     Parent Loop BB4_588 Depth=2
                                        ; =>    This Inner Loop Header: Depth=3
	s_sleep 1
	global_store_dwordx2 v[4:5], v[22:23], off
	buffer_wbl2
	s_waitcnt vmcnt(0)
	global_atomic_cmpswap_x2 v[14:15], v43, v[20:23], s[2:3] offset:24 glc
	s_waitcnt vmcnt(0)
	v_cmp_eq_u64_e32 vcc, v[14:15], v[22:23]
	s_or_b64 s[0:1], vcc, s[0:1]
	v_pk_mov_b32 v[22:23], v[14:15], v[14:15] op_sel:[0,1]
	s_andn2_b64 exec, exec, s[0:1]
	s_cbranch_execnz .LBB4_668
	s_branch .LBB4_587
.LBB4_669:                              ;   in Loop: Header=BB4_3 Depth=1
.LBB4_670:                              ;   in Loop: Header=BB4_3 Depth=1
	s_and_b64 vcc, exec, s[12:13]
	s_cbranch_vccz .LBB4_783
.LBB4_671:                              ;   in Loop: Header=BB4_3 Depth=1
	s_waitcnt vmcnt(0)
	v_and_b32_e32 v8, 2, v18
	v_and_b32_e32 v12, -3, v18
	v_mov_b32_e32 v13, v19
	s_mov_b64 s[16:17], 45
	s_getpc_b64 s[14:15]
	s_add_u32 s14, s14, .str.6@rel32@lo+4
	s_addc_u32 s15, s15, .str.6@rel32@hi+12
	s_branch .LBB4_673
.LBB4_672:                              ;   in Loop: Header=BB4_673 Depth=2
	s_or_b64 exec, exec, s[22:23]
	s_sub_u32 s16, s16, s18
	s_subb_u32 s17, s17, s19
	s_add_u32 s14, s14, s18
	s_addc_u32 s15, s15, s19
	s_cmp_lg_u64 s[16:17], 0
	s_cbranch_scc0 .LBB4_754
.LBB4_673:                              ;   Parent Loop BB4_3 Depth=1
                                        ; =>  This Loop Header: Depth=2
                                        ;       Child Loop BB4_676 Depth 3
                                        ;       Child Loop BB4_683 Depth 3
	;; [unrolled: 1-line block ×11, first 2 shown]
	v_cmp_lt_u64_e64 s[0:1], s[16:17], 56
	s_and_b64 s[0:1], s[0:1], exec
	v_cmp_gt_u64_e64 s[0:1], s[16:17], 7
	s_cselect_b32 s19, s17, 0
	s_cselect_b32 s18, s16, 56
	s_and_b64 vcc, exec, s[0:1]
	s_cbranch_vccnz .LBB4_678
; %bb.674:                              ;   in Loop: Header=BB4_673 Depth=2
	s_mov_b64 s[0:1], 0
	s_cmp_eq_u64 s[16:17], 0
	s_waitcnt vmcnt(0)
	v_pk_mov_b32 v[14:15], 0, 0
	s_cbranch_scc1 .LBB4_677
; %bb.675:                              ;   in Loop: Header=BB4_673 Depth=2
	s_lshl_b64 s[20:21], s[18:19], 3
	s_mov_b64 s[22:23], 0
	v_pk_mov_b32 v[14:15], 0, 0
	s_mov_b64 s[24:25], s[14:15]
.LBB4_676:                              ;   Parent Loop BB4_3 Depth=1
                                        ;     Parent Loop BB4_673 Depth=2
                                        ; =>    This Inner Loop Header: Depth=3
	global_load_ubyte v1, v43, s[24:25]
	s_waitcnt vmcnt(0)
	v_and_b32_e32 v42, 0xffff, v1
	v_lshlrev_b64 v[4:5], s22, v[42:43]
	s_add_u32 s22, s22, 8
	s_addc_u32 s23, s23, 0
	s_add_u32 s24, s24, 1
	s_addc_u32 s25, s25, 0
	v_or_b32_e32 v14, v4, v14
	s_cmp_lg_u32 s20, s22
	v_or_b32_e32 v15, v5, v15
	s_cbranch_scc1 .LBB4_676
.LBB4_677:                              ;   in Loop: Header=BB4_673 Depth=2
	s_mov_b32 s24, 0
	s_andn2_b64 vcc, exec, s[0:1]
	s_mov_b64 s[0:1], s[14:15]
	s_cbranch_vccz .LBB4_679
	s_branch .LBB4_680
.LBB4_678:                              ;   in Loop: Header=BB4_673 Depth=2
                                        ; implicit-def: $vgpr14_vgpr15
                                        ; implicit-def: $sgpr24
	s_mov_b64 s[0:1], s[14:15]
.LBB4_679:                              ;   in Loop: Header=BB4_673 Depth=2
	global_load_dwordx2 v[14:15], v43, s[14:15]
	s_add_i32 s24, s18, -8
	s_add_u32 s0, s14, 8
	s_addc_u32 s1, s15, 0
.LBB4_680:                              ;   in Loop: Header=BB4_673 Depth=2
	s_cmp_gt_u32 s24, 7
	s_cbranch_scc1 .LBB4_684
; %bb.681:                              ;   in Loop: Header=BB4_673 Depth=2
	s_cmp_eq_u32 s24, 0
	s_cbranch_scc1 .LBB4_685
; %bb.682:                              ;   in Loop: Header=BB4_673 Depth=2
	s_mov_b64 s[20:21], 0
	v_pk_mov_b32 v[20:21], 0, 0
	s_mov_b64 s[22:23], 0
.LBB4_683:                              ;   Parent Loop BB4_3 Depth=1
                                        ;     Parent Loop BB4_673 Depth=2
                                        ; =>    This Inner Loop Header: Depth=3
	s_add_u32 s26, s0, s22
	s_addc_u32 s27, s1, s23
	global_load_ubyte v1, v43, s[26:27]
	s_add_u32 s22, s22, 1
	s_addc_u32 s23, s23, 0
	s_waitcnt vmcnt(0)
	v_and_b32_e32 v42, 0xffff, v1
	v_lshlrev_b64 v[4:5], s20, v[42:43]
	s_add_u32 s20, s20, 8
	s_addc_u32 s21, s21, 0
	v_or_b32_e32 v20, v4, v20
	s_cmp_lg_u32 s24, s22
	v_or_b32_e32 v21, v5, v21
	s_cbranch_scc1 .LBB4_683
	s_branch .LBB4_686
.LBB4_684:                              ;   in Loop: Header=BB4_673 Depth=2
                                        ; implicit-def: $vgpr20_vgpr21
                                        ; implicit-def: $sgpr25
	s_branch .LBB4_687
.LBB4_685:                              ;   in Loop: Header=BB4_673 Depth=2
	v_pk_mov_b32 v[20:21], 0, 0
.LBB4_686:                              ;   in Loop: Header=BB4_673 Depth=2
	s_mov_b32 s25, 0
	s_cbranch_execnz .LBB4_688
.LBB4_687:                              ;   in Loop: Header=BB4_673 Depth=2
	global_load_dwordx2 v[20:21], v43, s[0:1]
	s_add_i32 s25, s24, -8
	s_add_u32 s0, s0, 8
	s_addc_u32 s1, s1, 0
.LBB4_688:                              ;   in Loop: Header=BB4_673 Depth=2
	s_cmp_gt_u32 s25, 7
	s_cbranch_scc1 .LBB4_692
; %bb.689:                              ;   in Loop: Header=BB4_673 Depth=2
	s_cmp_eq_u32 s25, 0
	s_cbranch_scc1 .LBB4_693
; %bb.690:                              ;   in Loop: Header=BB4_673 Depth=2
	s_mov_b64 s[20:21], 0
	v_pk_mov_b32 v[22:23], 0, 0
	s_mov_b64 s[22:23], 0
.LBB4_691:                              ;   Parent Loop BB4_3 Depth=1
                                        ;     Parent Loop BB4_673 Depth=2
                                        ; =>    This Inner Loop Header: Depth=3
	s_add_u32 s26, s0, s22
	s_addc_u32 s27, s1, s23
	global_load_ubyte v1, v43, s[26:27]
	s_add_u32 s22, s22, 1
	s_addc_u32 s23, s23, 0
	s_waitcnt vmcnt(0)
	v_and_b32_e32 v42, 0xffff, v1
	v_lshlrev_b64 v[4:5], s20, v[42:43]
	s_add_u32 s20, s20, 8
	s_addc_u32 s21, s21, 0
	v_or_b32_e32 v22, v4, v22
	s_cmp_lg_u32 s25, s22
	v_or_b32_e32 v23, v5, v23
	s_cbranch_scc1 .LBB4_691
	s_branch .LBB4_694
.LBB4_692:                              ;   in Loop: Header=BB4_673 Depth=2
                                        ; implicit-def: $sgpr24
	s_branch .LBB4_695
.LBB4_693:                              ;   in Loop: Header=BB4_673 Depth=2
	v_pk_mov_b32 v[22:23], 0, 0
.LBB4_694:                              ;   in Loop: Header=BB4_673 Depth=2
	s_mov_b32 s24, 0
	s_cbranch_execnz .LBB4_696
.LBB4_695:                              ;   in Loop: Header=BB4_673 Depth=2
	global_load_dwordx2 v[22:23], v43, s[0:1]
	s_add_i32 s24, s25, -8
	s_add_u32 s0, s0, 8
	s_addc_u32 s1, s1, 0
.LBB4_696:                              ;   in Loop: Header=BB4_673 Depth=2
	s_cmp_gt_u32 s24, 7
	s_cbranch_scc1 .LBB4_700
; %bb.697:                              ;   in Loop: Header=BB4_673 Depth=2
	s_cmp_eq_u32 s24, 0
	s_cbranch_scc1 .LBB4_701
; %bb.698:                              ;   in Loop: Header=BB4_673 Depth=2
	s_mov_b64 s[20:21], 0
	v_pk_mov_b32 v[24:25], 0, 0
	s_mov_b64 s[22:23], 0
.LBB4_699:                              ;   Parent Loop BB4_3 Depth=1
                                        ;     Parent Loop BB4_673 Depth=2
                                        ; =>    This Inner Loop Header: Depth=3
	s_add_u32 s26, s0, s22
	s_addc_u32 s27, s1, s23
	global_load_ubyte v1, v43, s[26:27]
	s_add_u32 s22, s22, 1
	s_addc_u32 s23, s23, 0
	s_waitcnt vmcnt(0)
	v_and_b32_e32 v42, 0xffff, v1
	v_lshlrev_b64 v[4:5], s20, v[42:43]
	s_add_u32 s20, s20, 8
	s_addc_u32 s21, s21, 0
	v_or_b32_e32 v24, v4, v24
	s_cmp_lg_u32 s24, s22
	v_or_b32_e32 v25, v5, v25
	s_cbranch_scc1 .LBB4_699
	s_branch .LBB4_702
.LBB4_700:                              ;   in Loop: Header=BB4_673 Depth=2
                                        ; implicit-def: $vgpr24_vgpr25
                                        ; implicit-def: $sgpr25
	s_branch .LBB4_703
.LBB4_701:                              ;   in Loop: Header=BB4_673 Depth=2
	v_pk_mov_b32 v[24:25], 0, 0
.LBB4_702:                              ;   in Loop: Header=BB4_673 Depth=2
	s_mov_b32 s25, 0
	s_cbranch_execnz .LBB4_704
.LBB4_703:                              ;   in Loop: Header=BB4_673 Depth=2
	global_load_dwordx2 v[24:25], v43, s[0:1]
	s_add_i32 s25, s24, -8
	s_add_u32 s0, s0, 8
	s_addc_u32 s1, s1, 0
.LBB4_704:                              ;   in Loop: Header=BB4_673 Depth=2
	s_cmp_gt_u32 s25, 7
	s_cbranch_scc1 .LBB4_708
; %bb.705:                              ;   in Loop: Header=BB4_673 Depth=2
	s_cmp_eq_u32 s25, 0
	s_cbranch_scc1 .LBB4_709
; %bb.706:                              ;   in Loop: Header=BB4_673 Depth=2
	s_mov_b64 s[20:21], 0
	v_pk_mov_b32 v[26:27], 0, 0
	s_mov_b64 s[22:23], 0
.LBB4_707:                              ;   Parent Loop BB4_3 Depth=1
                                        ;     Parent Loop BB4_673 Depth=2
                                        ; =>    This Inner Loop Header: Depth=3
	s_add_u32 s26, s0, s22
	s_addc_u32 s27, s1, s23
	global_load_ubyte v1, v43, s[26:27]
	s_add_u32 s22, s22, 1
	s_addc_u32 s23, s23, 0
	s_waitcnt vmcnt(0)
	v_and_b32_e32 v42, 0xffff, v1
	v_lshlrev_b64 v[4:5], s20, v[42:43]
	s_add_u32 s20, s20, 8
	s_addc_u32 s21, s21, 0
	v_or_b32_e32 v26, v4, v26
	s_cmp_lg_u32 s25, s22
	v_or_b32_e32 v27, v5, v27
	s_cbranch_scc1 .LBB4_707
	s_branch .LBB4_710
.LBB4_708:                              ;   in Loop: Header=BB4_673 Depth=2
                                        ; implicit-def: $sgpr24
	s_branch .LBB4_711
.LBB4_709:                              ;   in Loop: Header=BB4_673 Depth=2
	v_pk_mov_b32 v[26:27], 0, 0
.LBB4_710:                              ;   in Loop: Header=BB4_673 Depth=2
	s_mov_b32 s24, 0
	s_cbranch_execnz .LBB4_712
.LBB4_711:                              ;   in Loop: Header=BB4_673 Depth=2
	global_load_dwordx2 v[26:27], v43, s[0:1]
	s_add_i32 s24, s25, -8
	s_add_u32 s0, s0, 8
	s_addc_u32 s1, s1, 0
.LBB4_712:                              ;   in Loop: Header=BB4_673 Depth=2
	s_cmp_gt_u32 s24, 7
	s_cbranch_scc1 .LBB4_716
; %bb.713:                              ;   in Loop: Header=BB4_673 Depth=2
	s_cmp_eq_u32 s24, 0
	s_cbranch_scc1 .LBB4_717
; %bb.714:                              ;   in Loop: Header=BB4_673 Depth=2
	s_mov_b64 s[20:21], 0
	v_pk_mov_b32 v[28:29], 0, 0
	s_mov_b64 s[22:23], 0
.LBB4_715:                              ;   Parent Loop BB4_3 Depth=1
                                        ;     Parent Loop BB4_673 Depth=2
                                        ; =>    This Inner Loop Header: Depth=3
	s_add_u32 s26, s0, s22
	s_addc_u32 s27, s1, s23
	global_load_ubyte v1, v43, s[26:27]
	s_add_u32 s22, s22, 1
	s_addc_u32 s23, s23, 0
	s_waitcnt vmcnt(0)
	v_and_b32_e32 v42, 0xffff, v1
	v_lshlrev_b64 v[4:5], s20, v[42:43]
	s_add_u32 s20, s20, 8
	s_addc_u32 s21, s21, 0
	v_or_b32_e32 v28, v4, v28
	s_cmp_lg_u32 s24, s22
	v_or_b32_e32 v29, v5, v29
	s_cbranch_scc1 .LBB4_715
	s_branch .LBB4_718
.LBB4_716:                              ;   in Loop: Header=BB4_673 Depth=2
                                        ; implicit-def: $vgpr28_vgpr29
                                        ; implicit-def: $sgpr25
	s_branch .LBB4_719
.LBB4_717:                              ;   in Loop: Header=BB4_673 Depth=2
	v_pk_mov_b32 v[28:29], 0, 0
.LBB4_718:                              ;   in Loop: Header=BB4_673 Depth=2
	s_mov_b32 s25, 0
	s_cbranch_execnz .LBB4_720
.LBB4_719:                              ;   in Loop: Header=BB4_673 Depth=2
	global_load_dwordx2 v[28:29], v43, s[0:1]
	s_add_i32 s25, s24, -8
	s_add_u32 s0, s0, 8
	s_addc_u32 s1, s1, 0
.LBB4_720:                              ;   in Loop: Header=BB4_673 Depth=2
	s_cmp_gt_u32 s25, 7
	s_cbranch_scc1 .LBB4_724
; %bb.721:                              ;   in Loop: Header=BB4_673 Depth=2
	s_cmp_eq_u32 s25, 0
	s_cbranch_scc1 .LBB4_725
; %bb.722:                              ;   in Loop: Header=BB4_673 Depth=2
	s_mov_b64 s[20:21], 0
	v_pk_mov_b32 v[30:31], 0, 0
	s_mov_b64 s[22:23], s[0:1]
.LBB4_723:                              ;   Parent Loop BB4_3 Depth=1
                                        ;     Parent Loop BB4_673 Depth=2
                                        ; =>    This Inner Loop Header: Depth=3
	global_load_ubyte v1, v43, s[22:23]
	s_add_i32 s25, s25, -1
	s_waitcnt vmcnt(0)
	v_and_b32_e32 v42, 0xffff, v1
	v_lshlrev_b64 v[4:5], s20, v[42:43]
	s_add_u32 s20, s20, 8
	s_addc_u32 s21, s21, 0
	s_add_u32 s22, s22, 1
	s_addc_u32 s23, s23, 0
	v_or_b32_e32 v30, v4, v30
	s_cmp_lg_u32 s25, 0
	v_or_b32_e32 v31, v5, v31
	s_cbranch_scc1 .LBB4_723
	s_branch .LBB4_726
.LBB4_724:                              ;   in Loop: Header=BB4_673 Depth=2
	s_branch .LBB4_727
.LBB4_725:                              ;   in Loop: Header=BB4_673 Depth=2
	v_pk_mov_b32 v[30:31], 0, 0
.LBB4_726:                              ;   in Loop: Header=BB4_673 Depth=2
	s_cbranch_execnz .LBB4_728
.LBB4_727:                              ;   in Loop: Header=BB4_673 Depth=2
	global_load_dwordx2 v[30:31], v43, s[0:1]
.LBB4_728:                              ;   in Loop: Header=BB4_673 Depth=2
	v_readfirstlane_b32 s0, v40
	v_cmp_eq_u32_e64 s[0:1], s0, v40
	v_pk_mov_b32 v[4:5], 0, 0
	s_and_saveexec_b64 s[20:21], s[0:1]
	s_cbranch_execz .LBB4_734
; %bb.729:                              ;   in Loop: Header=BB4_673 Depth=2
	global_load_dwordx2 v[34:35], v43, s[2:3] offset:24 glc
	s_waitcnt vmcnt(0)
	buffer_invl2
	buffer_wbinvl1_vol
	global_load_dwordx2 v[4:5], v43, s[2:3] offset:40
	global_load_dwordx2 v[32:33], v43, s[2:3]
	s_waitcnt vmcnt(1)
	v_and_b32_e32 v1, v4, v34
	v_and_b32_e32 v2, v5, v35
	v_mul_lo_u32 v2, v2, 24
	v_mul_hi_u32 v4, v1, 24
	v_mul_lo_u32 v1, v1, 24
	v_add_u32_e32 v2, v4, v2
	s_waitcnt vmcnt(0)
	v_add_co_u32_e32 v4, vcc, v32, v1
	v_addc_co_u32_e32 v5, vcc, v33, v2, vcc
	global_load_dwordx2 v[32:33], v[4:5], off glc
	s_waitcnt vmcnt(0)
	global_atomic_cmpswap_x2 v[4:5], v43, v[32:35], s[2:3] offset:24 glc
	s_waitcnt vmcnt(0)
	buffer_invl2
	buffer_wbinvl1_vol
	v_cmp_ne_u64_e32 vcc, v[4:5], v[34:35]
	s_and_saveexec_b64 s[22:23], vcc
	s_cbranch_execz .LBB4_733
; %bb.730:                              ;   in Loop: Header=BB4_673 Depth=2
	s_mov_b64 s[24:25], 0
.LBB4_731:                              ;   Parent Loop BB4_3 Depth=1
                                        ;     Parent Loop BB4_673 Depth=2
                                        ; =>    This Inner Loop Header: Depth=3
	s_sleep 1
	global_load_dwordx2 v[32:33], v43, s[2:3] offset:40
	global_load_dwordx2 v[36:37], v43, s[2:3]
	v_pk_mov_b32 v[34:35], v[4:5], v[4:5] op_sel:[0,1]
	s_waitcnt vmcnt(1)
	v_and_b32_e32 v2, v32, v34
	s_waitcnt vmcnt(0)
	v_mad_u64_u32 v[4:5], s[26:27], v2, 24, v[36:37]
	v_and_b32_e32 v1, v33, v35
	v_mov_b32_e32 v2, v5
	v_mad_u64_u32 v[32:33], s[26:27], v1, 24, v[2:3]
	v_mov_b32_e32 v5, v32
	global_load_dwordx2 v[32:33], v[4:5], off glc
	s_waitcnt vmcnt(0)
	global_atomic_cmpswap_x2 v[4:5], v43, v[32:35], s[2:3] offset:24 glc
	s_waitcnt vmcnt(0)
	buffer_invl2
	buffer_wbinvl1_vol
	v_cmp_eq_u64_e32 vcc, v[4:5], v[34:35]
	s_or_b64 s[24:25], vcc, s[24:25]
	s_andn2_b64 exec, exec, s[24:25]
	s_cbranch_execnz .LBB4_731
; %bb.732:                              ;   in Loop: Header=BB4_673 Depth=2
	s_or_b64 exec, exec, s[24:25]
.LBB4_733:                              ;   in Loop: Header=BB4_673 Depth=2
	s_or_b64 exec, exec, s[22:23]
.LBB4_734:                              ;   in Loop: Header=BB4_673 Depth=2
	s_or_b64 exec, exec, s[20:21]
	global_load_dwordx2 v[36:37], v43, s[2:3] offset:40
	global_load_dwordx4 v[32:35], v43, s[2:3]
	v_readfirstlane_b32 s20, v4
	v_readfirstlane_b32 s21, v5
	s_mov_b64 s[22:23], exec
	s_waitcnt vmcnt(1)
	v_readfirstlane_b32 s24, v36
	v_readfirstlane_b32 s25, v37
	s_and_b64 s[24:25], s[20:21], s[24:25]
	s_mul_i32 s26, s25, 24
	s_mul_hi_u32 s27, s24, 24
	s_mul_i32 s33, s24, 24
	s_add_i32 s26, s27, s26
	v_mov_b32_e32 v1, s26
	s_waitcnt vmcnt(0)
	v_add_co_u32_e32 v36, vcc, s33, v32
	v_addc_co_u32_e32 v37, vcc, v33, v1, vcc
	s_and_saveexec_b64 s[26:27], s[0:1]
	s_cbranch_execz .LBB4_736
; %bb.735:                              ;   in Loop: Header=BB4_673 Depth=2
	v_pk_mov_b32 v[4:5], s[22:23], s[22:23] op_sel:[0,1]
	global_store_dwordx4 v[36:37], v[4:7], off offset:8
.LBB4_736:                              ;   in Loop: Header=BB4_673 Depth=2
	s_or_b64 exec, exec, s[26:27]
	s_lshl_b64 s[22:23], s[24:25], 12
	v_mov_b32_e32 v1, s23
	v_add_co_u32_e32 v4, vcc, s22, v34
	v_addc_co_u32_e32 v1, vcc, v35, v1, vcc
	v_or_b32_e32 v2, 0, v13
	v_or_b32_e32 v5, v12, v8
	v_cmp_gt_u64_e64 vcc, s[16:17], 56
	s_lshl_b32 s22, s18, 2
	v_cndmask_b32_e32 v13, v2, v13, vcc
	v_cndmask_b32_e32 v2, v5, v12, vcc
	s_add_i32 s22, s22, 28
	s_and_b32 s22, s22, 0x1e0
	v_and_b32_e32 v2, 0xffffff1f, v2
	v_or_b32_e32 v12, s22, v2
	v_readfirstlane_b32 s22, v4
	v_readfirstlane_b32 s23, v1
	s_nop 4
	global_store_dwordx4 v45, v[12:15], s[22:23]
	global_store_dwordx4 v45, v[20:23], s[22:23] offset:16
	global_store_dwordx4 v45, v[24:27], s[22:23] offset:32
	;; [unrolled: 1-line block ×3, first 2 shown]
	s_and_saveexec_b64 s[22:23], s[0:1]
	s_cbranch_execz .LBB4_744
; %bb.737:                              ;   in Loop: Header=BB4_673 Depth=2
	global_load_dwordx2 v[24:25], v43, s[2:3] offset:32 glc
	global_load_dwordx2 v[12:13], v43, s[2:3] offset:40
	v_mov_b32_e32 v22, s20
	v_mov_b32_e32 v23, s21
	s_waitcnt vmcnt(0)
	v_readfirstlane_b32 s24, v12
	v_readfirstlane_b32 s25, v13
	s_and_b64 s[24:25], s[24:25], s[20:21]
	s_mul_i32 s25, s25, 24
	s_mul_hi_u32 s26, s24, 24
	s_mul_i32 s24, s24, 24
	s_add_i32 s25, s26, s25
	v_mov_b32_e32 v2, s25
	v_add_co_u32_e32 v20, vcc, s24, v32
	v_addc_co_u32_e32 v21, vcc, v33, v2, vcc
	global_store_dwordx2 v[20:21], v[24:25], off
	buffer_wbl2
	s_waitcnt vmcnt(0)
	global_atomic_cmpswap_x2 v[14:15], v43, v[22:25], s[2:3] offset:32 glc
	s_waitcnt vmcnt(0)
	v_cmp_ne_u64_e32 vcc, v[14:15], v[24:25]
	s_and_saveexec_b64 s[24:25], vcc
	s_cbranch_execz .LBB4_740
; %bb.738:                              ;   in Loop: Header=BB4_673 Depth=2
	s_mov_b64 s[26:27], 0
.LBB4_739:                              ;   Parent Loop BB4_3 Depth=1
                                        ;     Parent Loop BB4_673 Depth=2
                                        ; =>    This Inner Loop Header: Depth=3
	s_sleep 1
	global_store_dwordx2 v[20:21], v[14:15], off
	v_mov_b32_e32 v12, s20
	v_mov_b32_e32 v13, s21
	buffer_wbl2
	s_waitcnt vmcnt(0)
	global_atomic_cmpswap_x2 v[12:13], v43, v[12:15], s[2:3] offset:32 glc
	s_waitcnt vmcnt(0)
	v_cmp_eq_u64_e32 vcc, v[12:13], v[14:15]
	s_or_b64 s[26:27], vcc, s[26:27]
	v_pk_mov_b32 v[14:15], v[12:13], v[12:13] op_sel:[0,1]
	s_andn2_b64 exec, exec, s[26:27]
	s_cbranch_execnz .LBB4_739
.LBB4_740:                              ;   in Loop: Header=BB4_673 Depth=2
	s_or_b64 exec, exec, s[24:25]
	global_load_dwordx2 v[12:13], v43, s[2:3] offset:16
	s_mov_b64 s[26:27], exec
	v_mbcnt_lo_u32_b32 v2, s26, 0
	v_mbcnt_hi_u32_b32 v2, s27, v2
	v_cmp_eq_u32_e32 vcc, 0, v2
	s_and_saveexec_b64 s[24:25], vcc
	s_cbranch_execz .LBB4_742
; %bb.741:                              ;   in Loop: Header=BB4_673 Depth=2
	s_bcnt1_i32_b64 s26, s[26:27]
	v_mov_b32_e32 v2, s26
	buffer_wbl2
	s_waitcnt vmcnt(0)
	global_atomic_add_x2 v[12:13], v[2:3], off offset:8
.LBB4_742:                              ;   in Loop: Header=BB4_673 Depth=2
	s_or_b64 exec, exec, s[24:25]
	s_waitcnt vmcnt(0)
	global_load_dwordx2 v[14:15], v[12:13], off offset:16
	s_waitcnt vmcnt(0)
	v_cmp_eq_u64_e32 vcc, 0, v[14:15]
	s_cbranch_vccnz .LBB4_744
; %bb.743:                              ;   in Loop: Header=BB4_673 Depth=2
	global_load_dword v42, v[12:13], off offset:24
	s_waitcnt vmcnt(0)
	v_and_b32_e32 v2, 0xffffff, v42
	v_readfirstlane_b32 m0, v2
	buffer_wbl2
	global_store_dwordx2 v[14:15], v[42:43], off
	s_sendmsg sendmsg(MSG_INTERRUPT)
.LBB4_744:                              ;   in Loop: Header=BB4_673 Depth=2
	s_or_b64 exec, exec, s[22:23]
	v_add_co_u32_e32 v4, vcc, v4, v45
	v_addc_co_u32_e32 v5, vcc, 0, v1, vcc
	s_branch .LBB4_748
.LBB4_745:                              ;   in Loop: Header=BB4_748 Depth=3
	s_or_b64 exec, exec, s[22:23]
	v_readfirstlane_b32 s22, v1
	s_cmp_eq_u32 s22, 0
	s_cbranch_scc1 .LBB4_747
; %bb.746:                              ;   in Loop: Header=BB4_748 Depth=3
	s_sleep 1
	s_cbranch_execnz .LBB4_748
	s_branch .LBB4_750
.LBB4_747:                              ;   in Loop: Header=BB4_673 Depth=2
	s_branch .LBB4_750
.LBB4_748:                              ;   Parent Loop BB4_3 Depth=1
                                        ;     Parent Loop BB4_673 Depth=2
                                        ; =>    This Inner Loop Header: Depth=3
	v_mov_b32_e32 v1, 1
	s_and_saveexec_b64 s[22:23], s[0:1]
	s_cbranch_execz .LBB4_745
; %bb.749:                              ;   in Loop: Header=BB4_748 Depth=3
	global_load_dword v1, v[36:37], off offset:20 glc
	s_waitcnt vmcnt(0)
	buffer_invl2
	buffer_wbinvl1_vol
	v_and_b32_e32 v1, 1, v1
	s_branch .LBB4_745
.LBB4_750:                              ;   in Loop: Header=BB4_673 Depth=2
	global_load_dwordx4 v[12:15], v[4:5], off
	s_and_saveexec_b64 s[22:23], s[0:1]
	s_cbranch_execz .LBB4_672
; %bb.751:                              ;   in Loop: Header=BB4_673 Depth=2
	global_load_dwordx2 v[4:5], v43, s[2:3] offset:40
	global_load_dwordx2 v[14:15], v43, s[2:3] offset:24 glc
	global_load_dwordx2 v[24:25], v43, s[2:3]
	v_mov_b32_e32 v1, s21
	s_waitcnt vmcnt(2)
	v_add_co_u32_e32 v2, vcc, 1, v4
	v_addc_co_u32_e32 v9, vcc, 0, v5, vcc
	v_add_co_u32_e32 v20, vcc, s20, v2
	v_addc_co_u32_e32 v21, vcc, v9, v1, vcc
	v_cmp_eq_u64_e32 vcc, 0, v[20:21]
	v_cndmask_b32_e32 v21, v21, v9, vcc
	v_cndmask_b32_e32 v20, v20, v2, vcc
	v_and_b32_e32 v1, v21, v5
	v_and_b32_e32 v2, v20, v4
	v_mul_lo_u32 v1, v1, 24
	v_mul_hi_u32 v4, v2, 24
	v_mul_lo_u32 v2, v2, 24
	v_add_u32_e32 v1, v4, v1
	s_waitcnt vmcnt(0)
	v_add_co_u32_e32 v4, vcc, v24, v2
	v_addc_co_u32_e32 v5, vcc, v25, v1, vcc
	v_mov_b32_e32 v22, v14
	global_store_dwordx2 v[4:5], v[14:15], off
	v_mov_b32_e32 v23, v15
	buffer_wbl2
	s_waitcnt vmcnt(0)
	global_atomic_cmpswap_x2 v[22:23], v43, v[20:23], s[2:3] offset:24 glc
	s_waitcnt vmcnt(0)
	v_cmp_ne_u64_e32 vcc, v[22:23], v[14:15]
	s_and_b64 exec, exec, vcc
	s_cbranch_execz .LBB4_672
; %bb.752:                              ;   in Loop: Header=BB4_673 Depth=2
	s_mov_b64 s[0:1], 0
.LBB4_753:                              ;   Parent Loop BB4_3 Depth=1
                                        ;     Parent Loop BB4_673 Depth=2
                                        ; =>    This Inner Loop Header: Depth=3
	s_sleep 1
	global_store_dwordx2 v[4:5], v[22:23], off
	buffer_wbl2
	s_waitcnt vmcnt(0)
	global_atomic_cmpswap_x2 v[14:15], v43, v[20:23], s[2:3] offset:24 glc
	s_waitcnt vmcnt(0)
	v_cmp_eq_u64_e32 vcc, v[14:15], v[22:23]
	s_or_b64 s[0:1], vcc, s[0:1]
	v_pk_mov_b32 v[22:23], v[14:15], v[14:15] op_sel:[0,1]
	s_andn2_b64 exec, exec, s[0:1]
	s_cbranch_execnz .LBB4_753
	s_branch .LBB4_672
.LBB4_754:                              ;   in Loop: Header=BB4_3 Depth=1
	s_branch .LBB4_811
.LBB4_755:                              ;   in Loop: Header=BB4_3 Depth=1
                                        ; implicit-def: $vgpr18_vgpr19
	s_cbranch_execz .LBB4_670
; %bb.756:                              ;   in Loop: Header=BB4_3 Depth=1
	v_readfirstlane_b32 s0, v40
	v_cmp_eq_u32_e64 s[0:1], s0, v40
	v_pk_mov_b32 v[4:5], 0, 0
	s_and_saveexec_b64 s[14:15], s[0:1]
	s_cbranch_execz .LBB4_762
; %bb.757:                              ;   in Loop: Header=BB4_3 Depth=1
	global_load_dwordx2 v[20:21], v43, s[2:3] offset:24 glc
	s_waitcnt vmcnt(0)
	buffer_invl2
	buffer_wbinvl1_vol
	global_load_dwordx2 v[4:5], v43, s[2:3] offset:40
	global_load_dwordx2 v[8:9], v43, s[2:3]
	s_waitcnt vmcnt(1)
	v_and_b32_e32 v1, v4, v20
	v_and_b32_e32 v2, v5, v21
	v_mul_lo_u32 v2, v2, 24
	v_mul_hi_u32 v4, v1, 24
	v_mul_lo_u32 v1, v1, 24
	v_add_u32_e32 v2, v4, v2
	s_waitcnt vmcnt(0)
	v_add_co_u32_e32 v4, vcc, v8, v1
	v_addc_co_u32_e32 v5, vcc, v9, v2, vcc
	global_load_dwordx2 v[18:19], v[4:5], off glc
	s_waitcnt vmcnt(0)
	global_atomic_cmpswap_x2 v[4:5], v43, v[18:21], s[2:3] offset:24 glc
	s_waitcnt vmcnt(0)
	buffer_invl2
	buffer_wbinvl1_vol
	v_cmp_ne_u64_e32 vcc, v[4:5], v[20:21]
	s_and_saveexec_b64 s[16:17], vcc
	s_cbranch_execz .LBB4_761
; %bb.758:                              ;   in Loop: Header=BB4_3 Depth=1
	s_mov_b64 s[18:19], 0
.LBB4_759:                              ;   Parent Loop BB4_3 Depth=1
                                        ; =>  This Inner Loop Header: Depth=2
	s_sleep 1
	global_load_dwordx2 v[8:9], v43, s[2:3] offset:40
	global_load_dwordx2 v[14:15], v43, s[2:3]
	v_pk_mov_b32 v[20:21], v[4:5], v[4:5] op_sel:[0,1]
	s_waitcnt vmcnt(1)
	v_and_b32_e32 v2, v8, v20
	s_waitcnt vmcnt(0)
	v_mad_u64_u32 v[4:5], s[20:21], v2, 24, v[14:15]
	v_and_b32_e32 v1, v9, v21
	v_mov_b32_e32 v2, v5
	v_mad_u64_u32 v[8:9], s[20:21], v1, 24, v[2:3]
	v_mov_b32_e32 v5, v8
	global_load_dwordx2 v[18:19], v[4:5], off glc
	s_waitcnt vmcnt(0)
	global_atomic_cmpswap_x2 v[4:5], v43, v[18:21], s[2:3] offset:24 glc
	s_waitcnt vmcnt(0)
	buffer_invl2
	buffer_wbinvl1_vol
	v_cmp_eq_u64_e32 vcc, v[4:5], v[20:21]
	s_or_b64 s[18:19], vcc, s[18:19]
	s_andn2_b64 exec, exec, s[18:19]
	s_cbranch_execnz .LBB4_759
; %bb.760:                              ;   in Loop: Header=BB4_3 Depth=1
	s_or_b64 exec, exec, s[18:19]
.LBB4_761:                              ;   in Loop: Header=BB4_3 Depth=1
	s_or_b64 exec, exec, s[16:17]
.LBB4_762:                              ;   in Loop: Header=BB4_3 Depth=1
	s_or_b64 exec, exec, s[14:15]
	global_load_dwordx2 v[8:9], v43, s[2:3] offset:40
	global_load_dwordx4 v[18:21], v43, s[2:3]
	v_readfirstlane_b32 s14, v4
	v_readfirstlane_b32 s15, v5
	s_mov_b64 s[16:17], exec
	s_waitcnt vmcnt(1)
	v_readfirstlane_b32 s18, v8
	v_readfirstlane_b32 s19, v9
	s_and_b64 s[18:19], s[14:15], s[18:19]
	s_mul_i32 s20, s19, 24
	s_mul_hi_u32 s21, s18, 24
	s_mul_i32 s22, s18, 24
	s_add_i32 s20, s21, s20
	v_mov_b32_e32 v1, s20
	s_waitcnt vmcnt(0)
	v_add_co_u32_e32 v8, vcc, s22, v18
	v_addc_co_u32_e32 v9, vcc, v19, v1, vcc
	s_and_saveexec_b64 s[20:21], s[0:1]
	s_cbranch_execz .LBB4_764
; %bb.763:                              ;   in Loop: Header=BB4_3 Depth=1
	v_pk_mov_b32 v[4:5], s[16:17], s[16:17] op_sel:[0,1]
	global_store_dwordx4 v[8:9], v[4:7], off offset:8
.LBB4_764:                              ;   in Loop: Header=BB4_3 Depth=1
	s_or_b64 exec, exec, s[20:21]
	s_lshl_b64 s[16:17], s[18:19], 12
	v_mov_b32_e32 v1, s17
	v_add_co_u32_e32 v4, vcc, s16, v20
	v_addc_co_u32_e32 v1, vcc, v21, v1, vcc
	v_and_or_b32 v12, v12, s29, 32
	v_mov_b32_e32 v14, v3
	v_mov_b32_e32 v15, v3
	v_readfirstlane_b32 s16, v4
	v_readfirstlane_b32 s17, v1
	s_nop 4
	global_store_dwordx4 v45, v[12:15], s[16:17]
	s_nop 0
	v_pk_mov_b32 v[14:15], s[10:11], s[10:11] op_sel:[0,1]
	v_pk_mov_b32 v[12:13], s[8:9], s[8:9] op_sel:[0,1]
	global_store_dwordx4 v45, v[12:15], s[16:17] offset:16
	global_store_dwordx4 v45, v[12:15], s[16:17] offset:32
	;; [unrolled: 1-line block ×3, first 2 shown]
	s_and_saveexec_b64 s[16:17], s[0:1]
	s_cbranch_execz .LBB4_772
; %bb.765:                              ;   in Loop: Header=BB4_3 Depth=1
	global_load_dwordx2 v[22:23], v43, s[2:3] offset:32 glc
	global_load_dwordx2 v[12:13], v43, s[2:3] offset:40
	v_mov_b32_e32 v20, s14
	v_mov_b32_e32 v21, s15
	s_waitcnt vmcnt(0)
	v_readfirstlane_b32 s18, v12
	v_readfirstlane_b32 s19, v13
	s_and_b64 s[18:19], s[18:19], s[14:15]
	s_mul_i32 s19, s19, 24
	s_mul_hi_u32 s20, s18, 24
	s_mul_i32 s18, s18, 24
	s_add_i32 s19, s20, s19
	v_mov_b32_e32 v2, s19
	v_add_co_u32_e32 v18, vcc, s18, v18
	v_addc_co_u32_e32 v19, vcc, v19, v2, vcc
	global_store_dwordx2 v[18:19], v[22:23], off
	buffer_wbl2
	s_waitcnt vmcnt(0)
	global_atomic_cmpswap_x2 v[14:15], v43, v[20:23], s[2:3] offset:32 glc
	s_waitcnt vmcnt(0)
	v_cmp_ne_u64_e32 vcc, v[14:15], v[22:23]
	s_and_saveexec_b64 s[18:19], vcc
	s_cbranch_execz .LBB4_768
; %bb.766:                              ;   in Loop: Header=BB4_3 Depth=1
	s_mov_b64 s[20:21], 0
.LBB4_767:                              ;   Parent Loop BB4_3 Depth=1
                                        ; =>  This Inner Loop Header: Depth=2
	s_sleep 1
	global_store_dwordx2 v[18:19], v[14:15], off
	v_mov_b32_e32 v12, s14
	v_mov_b32_e32 v13, s15
	buffer_wbl2
	s_waitcnt vmcnt(0)
	global_atomic_cmpswap_x2 v[12:13], v43, v[12:15], s[2:3] offset:32 glc
	s_waitcnt vmcnt(0)
	v_cmp_eq_u64_e32 vcc, v[12:13], v[14:15]
	s_or_b64 s[20:21], vcc, s[20:21]
	v_pk_mov_b32 v[14:15], v[12:13], v[12:13] op_sel:[0,1]
	s_andn2_b64 exec, exec, s[20:21]
	s_cbranch_execnz .LBB4_767
.LBB4_768:                              ;   in Loop: Header=BB4_3 Depth=1
	s_or_b64 exec, exec, s[18:19]
	global_load_dwordx2 v[12:13], v43, s[2:3] offset:16
	s_mov_b64 s[20:21], exec
	v_mbcnt_lo_u32_b32 v2, s20, 0
	v_mbcnt_hi_u32_b32 v2, s21, v2
	v_cmp_eq_u32_e32 vcc, 0, v2
	s_and_saveexec_b64 s[18:19], vcc
	s_cbranch_execz .LBB4_770
; %bb.769:                              ;   in Loop: Header=BB4_3 Depth=1
	s_bcnt1_i32_b64 s20, s[20:21]
	v_mov_b32_e32 v2, s20
	buffer_wbl2
	s_waitcnt vmcnt(0)
	global_atomic_add_x2 v[12:13], v[2:3], off offset:8
.LBB4_770:                              ;   in Loop: Header=BB4_3 Depth=1
	s_or_b64 exec, exec, s[18:19]
	s_waitcnt vmcnt(0)
	global_load_dwordx2 v[14:15], v[12:13], off offset:16
	s_waitcnt vmcnt(0)
	v_cmp_eq_u64_e32 vcc, 0, v[14:15]
	s_cbranch_vccnz .LBB4_772
; %bb.771:                              ;   in Loop: Header=BB4_3 Depth=1
	global_load_dword v42, v[12:13], off offset:24
	s_waitcnt vmcnt(0)
	v_and_b32_e32 v2, 0xffffff, v42
	v_readfirstlane_b32 m0, v2
	buffer_wbl2
	global_store_dwordx2 v[14:15], v[42:43], off
	s_sendmsg sendmsg(MSG_INTERRUPT)
.LBB4_772:                              ;   in Loop: Header=BB4_3 Depth=1
	s_or_b64 exec, exec, s[16:17]
	v_add_co_u32_e32 v4, vcc, v4, v45
	v_addc_co_u32_e32 v5, vcc, 0, v1, vcc
	s_branch .LBB4_776
.LBB4_773:                              ;   in Loop: Header=BB4_776 Depth=2
	s_or_b64 exec, exec, s[16:17]
	v_readfirstlane_b32 s16, v1
	s_cmp_eq_u32 s16, 0
	s_cbranch_scc1 .LBB4_775
; %bb.774:                              ;   in Loop: Header=BB4_776 Depth=2
	s_sleep 1
	s_cbranch_execnz .LBB4_776
	s_branch .LBB4_778
.LBB4_775:                              ;   in Loop: Header=BB4_3 Depth=1
	s_branch .LBB4_778
.LBB4_776:                              ;   Parent Loop BB4_3 Depth=1
                                        ; =>  This Inner Loop Header: Depth=2
	v_mov_b32_e32 v1, 1
	s_and_saveexec_b64 s[16:17], s[0:1]
	s_cbranch_execz .LBB4_773
; %bb.777:                              ;   in Loop: Header=BB4_776 Depth=2
	global_load_dword v1, v[8:9], off offset:20 glc
	s_waitcnt vmcnt(0)
	buffer_invl2
	buffer_wbinvl1_vol
	v_and_b32_e32 v1, 1, v1
	s_branch .LBB4_773
.LBB4_778:                              ;   in Loop: Header=BB4_3 Depth=1
	global_load_dwordx2 v[18:19], v[4:5], off
	s_and_saveexec_b64 s[16:17], s[0:1]
	s_cbranch_execz .LBB4_782
; %bb.779:                              ;   in Loop: Header=BB4_3 Depth=1
	global_load_dwordx2 v[4:5], v43, s[2:3] offset:40
	global_load_dwordx2 v[8:9], v43, s[2:3] offset:24 glc
	global_load_dwordx2 v[20:21], v43, s[2:3]
	v_mov_b32_e32 v1, s15
	s_waitcnt vmcnt(2)
	v_add_co_u32_e32 v2, vcc, 1, v4
	v_addc_co_u32_e32 v11, vcc, 0, v5, vcc
	v_add_co_u32_e32 v12, vcc, s14, v2
	v_addc_co_u32_e32 v13, vcc, v11, v1, vcc
	v_cmp_eq_u64_e32 vcc, 0, v[12:13]
	v_cndmask_b32_e32 v13, v13, v11, vcc
	v_cndmask_b32_e32 v12, v12, v2, vcc
	v_and_b32_e32 v1, v13, v5
	v_and_b32_e32 v2, v12, v4
	v_mul_lo_u32 v1, v1, 24
	v_mul_hi_u32 v4, v2, 24
	v_mul_lo_u32 v2, v2, 24
	v_add_u32_e32 v1, v4, v1
	s_waitcnt vmcnt(0)
	v_add_co_u32_e32 v4, vcc, v20, v2
	v_addc_co_u32_e32 v5, vcc, v21, v1, vcc
	v_mov_b32_e32 v14, v8
	global_store_dwordx2 v[4:5], v[8:9], off
	v_mov_b32_e32 v15, v9
	buffer_wbl2
	s_waitcnt vmcnt(0)
	global_atomic_cmpswap_x2 v[14:15], v43, v[12:15], s[2:3] offset:24 glc
	s_waitcnt vmcnt(0)
	v_cmp_ne_u64_e32 vcc, v[14:15], v[8:9]
	s_and_b64 exec, exec, vcc
	s_cbranch_execz .LBB4_782
; %bb.780:                              ;   in Loop: Header=BB4_3 Depth=1
	s_mov_b64 s[0:1], 0
.LBB4_781:                              ;   Parent Loop BB4_3 Depth=1
                                        ; =>  This Inner Loop Header: Depth=2
	s_sleep 1
	global_store_dwordx2 v[4:5], v[14:15], off
	buffer_wbl2
	s_waitcnt vmcnt(0)
	global_atomic_cmpswap_x2 v[8:9], v43, v[12:15], s[2:3] offset:24 glc
	s_waitcnt vmcnt(0)
	v_cmp_eq_u64_e32 vcc, v[8:9], v[14:15]
	s_or_b64 s[0:1], vcc, s[0:1]
	v_pk_mov_b32 v[14:15], v[8:9], v[8:9] op_sel:[0,1]
	s_andn2_b64 exec, exec, s[0:1]
	s_cbranch_execnz .LBB4_781
.LBB4_782:                              ;   in Loop: Header=BB4_3 Depth=1
	s_or_b64 exec, exec, s[16:17]
	s_and_b64 vcc, exec, s[12:13]
	s_cbranch_vccnz .LBB4_671
.LBB4_783:                              ;   in Loop: Header=BB4_3 Depth=1
                                        ; implicit-def: $vgpr12_vgpr13
	s_cbranch_execz .LBB4_811
; %bb.784:                              ;   in Loop: Header=BB4_3 Depth=1
	v_readfirstlane_b32 s0, v40
	v_cmp_eq_u32_e64 s[0:1], s0, v40
	v_pk_mov_b32 v[4:5], 0, 0
	s_and_saveexec_b64 s[14:15], s[0:1]
	s_cbranch_execz .LBB4_790
; %bb.785:                              ;   in Loop: Header=BB4_3 Depth=1
	global_load_dwordx2 v[14:15], v43, s[2:3] offset:24 glc
	s_waitcnt vmcnt(0)
	buffer_invl2
	buffer_wbinvl1_vol
	global_load_dwordx2 v[4:5], v43, s[2:3] offset:40
	global_load_dwordx2 v[8:9], v43, s[2:3]
	s_waitcnt vmcnt(1)
	v_and_b32_e32 v1, v4, v14
	v_and_b32_e32 v2, v5, v15
	v_mul_lo_u32 v2, v2, 24
	v_mul_hi_u32 v4, v1, 24
	v_mul_lo_u32 v1, v1, 24
	v_add_u32_e32 v2, v4, v2
	s_waitcnt vmcnt(0)
	v_add_co_u32_e32 v4, vcc, v8, v1
	v_addc_co_u32_e32 v5, vcc, v9, v2, vcc
	global_load_dwordx2 v[12:13], v[4:5], off glc
	s_waitcnt vmcnt(0)
	global_atomic_cmpswap_x2 v[4:5], v43, v[12:15], s[2:3] offset:24 glc
	s_waitcnt vmcnt(0)
	buffer_invl2
	buffer_wbinvl1_vol
	v_cmp_ne_u64_e32 vcc, v[4:5], v[14:15]
	s_and_saveexec_b64 s[16:17], vcc
	s_cbranch_execz .LBB4_789
; %bb.786:                              ;   in Loop: Header=BB4_3 Depth=1
	s_mov_b64 s[18:19], 0
.LBB4_787:                              ;   Parent Loop BB4_3 Depth=1
                                        ; =>  This Inner Loop Header: Depth=2
	s_sleep 1
	global_load_dwordx2 v[8:9], v43, s[2:3] offset:40
	global_load_dwordx2 v[12:13], v43, s[2:3]
	v_pk_mov_b32 v[14:15], v[4:5], v[4:5] op_sel:[0,1]
	s_waitcnt vmcnt(1)
	v_and_b32_e32 v2, v8, v14
	s_waitcnt vmcnt(0)
	v_mad_u64_u32 v[4:5], s[20:21], v2, 24, v[12:13]
	v_and_b32_e32 v1, v9, v15
	v_mov_b32_e32 v2, v5
	v_mad_u64_u32 v[8:9], s[20:21], v1, 24, v[2:3]
	v_mov_b32_e32 v5, v8
	global_load_dwordx2 v[12:13], v[4:5], off glc
	s_waitcnt vmcnt(0)
	global_atomic_cmpswap_x2 v[4:5], v43, v[12:15], s[2:3] offset:24 glc
	s_waitcnt vmcnt(0)
	buffer_invl2
	buffer_wbinvl1_vol
	v_cmp_eq_u64_e32 vcc, v[4:5], v[14:15]
	s_or_b64 s[18:19], vcc, s[18:19]
	s_andn2_b64 exec, exec, s[18:19]
	s_cbranch_execnz .LBB4_787
; %bb.788:                              ;   in Loop: Header=BB4_3 Depth=1
	s_or_b64 exec, exec, s[18:19]
.LBB4_789:                              ;   in Loop: Header=BB4_3 Depth=1
	s_or_b64 exec, exec, s[16:17]
.LBB4_790:                              ;   in Loop: Header=BB4_3 Depth=1
	s_or_b64 exec, exec, s[14:15]
	global_load_dwordx2 v[8:9], v43, s[2:3] offset:40
	global_load_dwordx4 v[12:15], v43, s[2:3]
	v_readfirstlane_b32 s14, v4
	v_readfirstlane_b32 s15, v5
	s_mov_b64 s[16:17], exec
	s_waitcnt vmcnt(1)
	v_readfirstlane_b32 s18, v8
	v_readfirstlane_b32 s19, v9
	s_and_b64 s[18:19], s[14:15], s[18:19]
	s_mul_i32 s20, s19, 24
	s_mul_hi_u32 s21, s18, 24
	s_mul_i32 s22, s18, 24
	s_add_i32 s20, s21, s20
	v_mov_b32_e32 v1, s20
	s_waitcnt vmcnt(0)
	v_add_co_u32_e32 v8, vcc, s22, v12
	v_addc_co_u32_e32 v9, vcc, v13, v1, vcc
	s_and_saveexec_b64 s[20:21], s[0:1]
	s_cbranch_execz .LBB4_792
; %bb.791:                              ;   in Loop: Header=BB4_3 Depth=1
	v_pk_mov_b32 v[4:5], s[16:17], s[16:17] op_sel:[0,1]
	global_store_dwordx4 v[8:9], v[4:7], off offset:8
.LBB4_792:                              ;   in Loop: Header=BB4_3 Depth=1
	s_or_b64 exec, exec, s[20:21]
	s_lshl_b64 s[16:17], s[18:19], 12
	v_mov_b32_e32 v1, s17
	v_add_co_u32_e32 v4, vcc, s16, v14
	v_addc_co_u32_e32 v1, vcc, v15, v1, vcc
	v_and_or_b32 v18, v18, s29, 32
	v_mov_b32_e32 v20, v3
	v_mov_b32_e32 v21, v3
	v_readfirstlane_b32 s16, v4
	v_readfirstlane_b32 s17, v1
	s_nop 4
	global_store_dwordx4 v45, v[18:21], s[16:17]
	s_nop 0
	v_pk_mov_b32 v[20:21], s[10:11], s[10:11] op_sel:[0,1]
	v_pk_mov_b32 v[18:19], s[8:9], s[8:9] op_sel:[0,1]
	global_store_dwordx4 v45, v[18:21], s[16:17] offset:16
	global_store_dwordx4 v45, v[18:21], s[16:17] offset:32
	;; [unrolled: 1-line block ×3, first 2 shown]
	s_and_saveexec_b64 s[16:17], s[0:1]
	s_cbranch_execz .LBB4_800
; %bb.793:                              ;   in Loop: Header=BB4_3 Depth=1
	global_load_dwordx2 v[22:23], v43, s[2:3] offset:32 glc
	global_load_dwordx2 v[14:15], v43, s[2:3] offset:40
	v_mov_b32_e32 v20, s14
	v_mov_b32_e32 v21, s15
	s_waitcnt vmcnt(0)
	v_readfirstlane_b32 s18, v14
	v_readfirstlane_b32 s19, v15
	s_and_b64 s[18:19], s[18:19], s[14:15]
	s_mul_i32 s19, s19, 24
	s_mul_hi_u32 s20, s18, 24
	s_mul_i32 s18, s18, 24
	s_add_i32 s19, s20, s19
	v_mov_b32_e32 v2, s19
	v_add_co_u32_e32 v18, vcc, s18, v12
	v_addc_co_u32_e32 v19, vcc, v13, v2, vcc
	global_store_dwordx2 v[18:19], v[22:23], off
	buffer_wbl2
	s_waitcnt vmcnt(0)
	global_atomic_cmpswap_x2 v[14:15], v43, v[20:23], s[2:3] offset:32 glc
	s_waitcnt vmcnt(0)
	v_cmp_ne_u64_e32 vcc, v[14:15], v[22:23]
	s_and_saveexec_b64 s[18:19], vcc
	s_cbranch_execz .LBB4_796
; %bb.794:                              ;   in Loop: Header=BB4_3 Depth=1
	s_mov_b64 s[20:21], 0
.LBB4_795:                              ;   Parent Loop BB4_3 Depth=1
                                        ; =>  This Inner Loop Header: Depth=2
	s_sleep 1
	global_store_dwordx2 v[18:19], v[14:15], off
	v_mov_b32_e32 v12, s14
	v_mov_b32_e32 v13, s15
	buffer_wbl2
	s_waitcnt vmcnt(0)
	global_atomic_cmpswap_x2 v[12:13], v43, v[12:15], s[2:3] offset:32 glc
	s_waitcnt vmcnt(0)
	v_cmp_eq_u64_e32 vcc, v[12:13], v[14:15]
	s_or_b64 s[20:21], vcc, s[20:21]
	v_pk_mov_b32 v[14:15], v[12:13], v[12:13] op_sel:[0,1]
	s_andn2_b64 exec, exec, s[20:21]
	s_cbranch_execnz .LBB4_795
.LBB4_796:                              ;   in Loop: Header=BB4_3 Depth=1
	s_or_b64 exec, exec, s[18:19]
	global_load_dwordx2 v[12:13], v43, s[2:3] offset:16
	s_mov_b64 s[20:21], exec
	v_mbcnt_lo_u32_b32 v2, s20, 0
	v_mbcnt_hi_u32_b32 v2, s21, v2
	v_cmp_eq_u32_e32 vcc, 0, v2
	s_and_saveexec_b64 s[18:19], vcc
	s_cbranch_execz .LBB4_798
; %bb.797:                              ;   in Loop: Header=BB4_3 Depth=1
	s_bcnt1_i32_b64 s20, s[20:21]
	v_mov_b32_e32 v2, s20
	buffer_wbl2
	s_waitcnt vmcnt(0)
	global_atomic_add_x2 v[12:13], v[2:3], off offset:8
.LBB4_798:                              ;   in Loop: Header=BB4_3 Depth=1
	s_or_b64 exec, exec, s[18:19]
	s_waitcnt vmcnt(0)
	global_load_dwordx2 v[14:15], v[12:13], off offset:16
	s_waitcnt vmcnt(0)
	v_cmp_eq_u64_e32 vcc, 0, v[14:15]
	s_cbranch_vccnz .LBB4_800
; %bb.799:                              ;   in Loop: Header=BB4_3 Depth=1
	global_load_dword v42, v[12:13], off offset:24
	s_waitcnt vmcnt(0)
	v_and_b32_e32 v2, 0xffffff, v42
	v_readfirstlane_b32 m0, v2
	buffer_wbl2
	global_store_dwordx2 v[14:15], v[42:43], off
	s_sendmsg sendmsg(MSG_INTERRUPT)
.LBB4_800:                              ;   in Loop: Header=BB4_3 Depth=1
	s_or_b64 exec, exec, s[16:17]
	v_add_co_u32_e32 v4, vcc, v4, v45
	v_addc_co_u32_e32 v5, vcc, 0, v1, vcc
	s_branch .LBB4_804
.LBB4_801:                              ;   in Loop: Header=BB4_804 Depth=2
	s_or_b64 exec, exec, s[16:17]
	v_readfirstlane_b32 s16, v1
	s_cmp_eq_u32 s16, 0
	s_cbranch_scc1 .LBB4_803
; %bb.802:                              ;   in Loop: Header=BB4_804 Depth=2
	s_sleep 1
	s_cbranch_execnz .LBB4_804
	s_branch .LBB4_806
.LBB4_803:                              ;   in Loop: Header=BB4_3 Depth=1
	s_branch .LBB4_806
.LBB4_804:                              ;   Parent Loop BB4_3 Depth=1
                                        ; =>  This Inner Loop Header: Depth=2
	v_mov_b32_e32 v1, 1
	s_and_saveexec_b64 s[16:17], s[0:1]
	s_cbranch_execz .LBB4_801
; %bb.805:                              ;   in Loop: Header=BB4_804 Depth=2
	global_load_dword v1, v[8:9], off offset:20 glc
	s_waitcnt vmcnt(0)
	buffer_invl2
	buffer_wbinvl1_vol
	v_and_b32_e32 v1, 1, v1
	s_branch .LBB4_801
.LBB4_806:                              ;   in Loop: Header=BB4_3 Depth=1
	global_load_dwordx2 v[12:13], v[4:5], off
	s_and_saveexec_b64 s[16:17], s[0:1]
	s_cbranch_execz .LBB4_810
; %bb.807:                              ;   in Loop: Header=BB4_3 Depth=1
	global_load_dwordx2 v[4:5], v43, s[2:3] offset:40
	global_load_dwordx2 v[8:9], v43, s[2:3] offset:24 glc
	global_load_dwordx2 v[14:15], v43, s[2:3]
	v_mov_b32_e32 v1, s15
	s_waitcnt vmcnt(2)
	v_add_co_u32_e32 v2, vcc, 1, v4
	v_addc_co_u32_e32 v11, vcc, 0, v5, vcc
	v_add_co_u32_e32 v18, vcc, s14, v2
	v_addc_co_u32_e32 v19, vcc, v11, v1, vcc
	v_cmp_eq_u64_e32 vcc, 0, v[18:19]
	v_cndmask_b32_e32 v19, v19, v11, vcc
	v_cndmask_b32_e32 v18, v18, v2, vcc
	v_and_b32_e32 v1, v19, v5
	v_and_b32_e32 v2, v18, v4
	v_mul_lo_u32 v1, v1, 24
	v_mul_hi_u32 v4, v2, 24
	v_mul_lo_u32 v2, v2, 24
	v_add_u32_e32 v1, v4, v1
	s_waitcnt vmcnt(0)
	v_add_co_u32_e32 v4, vcc, v14, v2
	v_addc_co_u32_e32 v5, vcc, v15, v1, vcc
	v_mov_b32_e32 v20, v8
	global_store_dwordx2 v[4:5], v[8:9], off
	v_mov_b32_e32 v21, v9
	buffer_wbl2
	s_waitcnt vmcnt(0)
	global_atomic_cmpswap_x2 v[20:21], v43, v[18:21], s[2:3] offset:24 glc
	s_waitcnt vmcnt(0)
	v_cmp_ne_u64_e32 vcc, v[20:21], v[8:9]
	s_and_b64 exec, exec, vcc
	s_cbranch_execz .LBB4_810
; %bb.808:                              ;   in Loop: Header=BB4_3 Depth=1
	s_mov_b64 s[0:1], 0
.LBB4_809:                              ;   Parent Loop BB4_3 Depth=1
                                        ; =>  This Inner Loop Header: Depth=2
	s_sleep 1
	global_store_dwordx2 v[4:5], v[20:21], off
	buffer_wbl2
	s_waitcnt vmcnt(0)
	global_atomic_cmpswap_x2 v[8:9], v43, v[18:21], s[2:3] offset:24 glc
	s_waitcnt vmcnt(0)
	v_cmp_eq_u64_e32 vcc, v[8:9], v[20:21]
	s_or_b64 s[0:1], vcc, s[0:1]
	v_pk_mov_b32 v[20:21], v[8:9], v[8:9] op_sel:[0,1]
	s_andn2_b64 exec, exec, s[0:1]
	s_cbranch_execnz .LBB4_809
.LBB4_810:                              ;   in Loop: Header=BB4_3 Depth=1
	s_or_b64 exec, exec, s[16:17]
.LBB4_811:                              ;   in Loop: Header=BB4_3 Depth=1
	v_readfirstlane_b32 s0, v40
	v_cmp_eq_u32_e64 s[0:1], s0, v40
	v_pk_mov_b32 v[4:5], 0, 0
	s_and_saveexec_b64 s[14:15], s[0:1]
	s_cbranch_execz .LBB4_817
; %bb.812:                              ;   in Loop: Header=BB4_3 Depth=1
	global_load_dwordx2 v[20:21], v43, s[2:3] offset:24 glc
	s_waitcnt vmcnt(0)
	buffer_invl2
	buffer_wbinvl1_vol
	global_load_dwordx2 v[4:5], v43, s[2:3] offset:40
	global_load_dwordx2 v[8:9], v43, s[2:3]
	s_waitcnt vmcnt(1)
	v_and_b32_e32 v1, v4, v20
	v_and_b32_e32 v2, v5, v21
	v_mul_lo_u32 v2, v2, 24
	v_mul_hi_u32 v4, v1, 24
	v_mul_lo_u32 v1, v1, 24
	v_add_u32_e32 v2, v4, v2
	s_waitcnt vmcnt(0)
	v_add_co_u32_e32 v4, vcc, v8, v1
	v_addc_co_u32_e32 v5, vcc, v9, v2, vcc
	global_load_dwordx2 v[18:19], v[4:5], off glc
	s_waitcnt vmcnt(0)
	global_atomic_cmpswap_x2 v[4:5], v43, v[18:21], s[2:3] offset:24 glc
	s_waitcnt vmcnt(0)
	buffer_invl2
	buffer_wbinvl1_vol
	v_cmp_ne_u64_e32 vcc, v[4:5], v[20:21]
	s_and_saveexec_b64 s[16:17], vcc
	s_cbranch_execz .LBB4_816
; %bb.813:                              ;   in Loop: Header=BB4_3 Depth=1
	s_mov_b64 s[18:19], 0
.LBB4_814:                              ;   Parent Loop BB4_3 Depth=1
                                        ; =>  This Inner Loop Header: Depth=2
	s_sleep 1
	global_load_dwordx2 v[8:9], v43, s[2:3] offset:40
	global_load_dwordx2 v[14:15], v43, s[2:3]
	v_pk_mov_b32 v[20:21], v[4:5], v[4:5] op_sel:[0,1]
	s_waitcnt vmcnt(1)
	v_and_b32_e32 v2, v8, v20
	s_waitcnt vmcnt(0)
	v_mad_u64_u32 v[4:5], s[20:21], v2, 24, v[14:15]
	v_and_b32_e32 v1, v9, v21
	v_mov_b32_e32 v2, v5
	v_mad_u64_u32 v[8:9], s[20:21], v1, 24, v[2:3]
	v_mov_b32_e32 v5, v8
	global_load_dwordx2 v[18:19], v[4:5], off glc
	s_waitcnt vmcnt(0)
	global_atomic_cmpswap_x2 v[4:5], v43, v[18:21], s[2:3] offset:24 glc
	s_waitcnt vmcnt(0)
	buffer_invl2
	buffer_wbinvl1_vol
	v_cmp_eq_u64_e32 vcc, v[4:5], v[20:21]
	s_or_b64 s[18:19], vcc, s[18:19]
	s_andn2_b64 exec, exec, s[18:19]
	s_cbranch_execnz .LBB4_814
; %bb.815:                              ;   in Loop: Header=BB4_3 Depth=1
	s_or_b64 exec, exec, s[18:19]
.LBB4_816:                              ;   in Loop: Header=BB4_3 Depth=1
	s_or_b64 exec, exec, s[16:17]
.LBB4_817:                              ;   in Loop: Header=BB4_3 Depth=1
	s_or_b64 exec, exec, s[14:15]
	global_load_dwordx2 v[8:9], v43, s[2:3] offset:40
	global_load_dwordx4 v[18:21], v43, s[2:3]
	v_readfirstlane_b32 s14, v4
	v_readfirstlane_b32 s15, v5
	s_mov_b64 s[16:17], exec
	s_waitcnt vmcnt(1)
	v_readfirstlane_b32 s18, v8
	v_readfirstlane_b32 s19, v9
	s_and_b64 s[18:19], s[14:15], s[18:19]
	s_mul_i32 s20, s19, 24
	s_mul_hi_u32 s21, s18, 24
	s_mul_i32 s22, s18, 24
	s_add_i32 s20, s21, s20
	v_mov_b32_e32 v1, s20
	s_waitcnt vmcnt(0)
	v_add_co_u32_e32 v22, vcc, s22, v18
	v_addc_co_u32_e32 v23, vcc, v19, v1, vcc
	s_and_saveexec_b64 s[20:21], s[0:1]
	s_cbranch_execz .LBB4_819
; %bb.818:                              ;   in Loop: Header=BB4_3 Depth=1
	v_pk_mov_b32 v[4:5], s[16:17], s[16:17] op_sel:[0,1]
	global_store_dwordx4 v[22:23], v[4:7], off offset:8
.LBB4_819:                              ;   in Loop: Header=BB4_3 Depth=1
	s_or_b64 exec, exec, s[20:21]
	s_lshl_b64 s[16:17], s[18:19], 12
	v_mov_b32_e32 v1, s17
	v_add_co_u32_e32 v4, vcc, s16, v20
	v_addc_co_u32_e32 v1, vcc, v21, v1, vcc
	v_mul_lo_u32 v14, v16, v10
	v_pk_mov_b32 v[8:9], s[8:9], s[8:9] op_sel:[0,1]
	v_and_or_b32 v12, v12, s30, 34
	v_mov_b32_e32 v15, v3
	v_readfirstlane_b32 s16, v4
	v_readfirstlane_b32 s17, v1
	v_pk_mov_b32 v[10:11], s[10:11], s[10:11] op_sel:[0,1]
	s_nop 3
	global_store_dwordx4 v45, v[12:15], s[16:17]
	global_store_dwordx4 v45, v[8:11], s[16:17] offset:16
	global_store_dwordx4 v45, v[8:11], s[16:17] offset:32
	;; [unrolled: 1-line block ×3, first 2 shown]
	s_and_saveexec_b64 s[16:17], s[0:1]
	s_cbranch_execz .LBB4_827
; %bb.820:                              ;   in Loop: Header=BB4_3 Depth=1
	global_load_dwordx2 v[26:27], v43, s[2:3] offset:32 glc
	global_load_dwordx2 v[8:9], v43, s[2:3] offset:40
	v_mov_b32_e32 v24, s14
	v_mov_b32_e32 v25, s15
	s_waitcnt vmcnt(0)
	v_readfirstlane_b32 s18, v8
	v_readfirstlane_b32 s19, v9
	s_and_b64 s[18:19], s[18:19], s[14:15]
	s_mul_i32 s19, s19, 24
	s_mul_hi_u32 s20, s18, 24
	s_mul_i32 s18, s18, 24
	s_add_i32 s19, s20, s19
	v_mov_b32_e32 v2, s19
	v_add_co_u32_e32 v12, vcc, s18, v18
	v_addc_co_u32_e32 v13, vcc, v19, v2, vcc
	global_store_dwordx2 v[12:13], v[26:27], off
	buffer_wbl2
	s_waitcnt vmcnt(0)
	global_atomic_cmpswap_x2 v[10:11], v43, v[24:27], s[2:3] offset:32 glc
	s_waitcnt vmcnt(0)
	v_cmp_ne_u64_e32 vcc, v[10:11], v[26:27]
	s_and_saveexec_b64 s[18:19], vcc
	s_cbranch_execz .LBB4_823
; %bb.821:                              ;   in Loop: Header=BB4_3 Depth=1
	s_mov_b64 s[20:21], 0
.LBB4_822:                              ;   Parent Loop BB4_3 Depth=1
                                        ; =>  This Inner Loop Header: Depth=2
	s_sleep 1
	global_store_dwordx2 v[12:13], v[10:11], off
	v_mov_b32_e32 v8, s14
	v_mov_b32_e32 v9, s15
	buffer_wbl2
	s_waitcnt vmcnt(0)
	global_atomic_cmpswap_x2 v[8:9], v43, v[8:11], s[2:3] offset:32 glc
	s_waitcnt vmcnt(0)
	v_cmp_eq_u64_e32 vcc, v[8:9], v[10:11]
	s_or_b64 s[20:21], vcc, s[20:21]
	v_pk_mov_b32 v[10:11], v[8:9], v[8:9] op_sel:[0,1]
	s_andn2_b64 exec, exec, s[20:21]
	s_cbranch_execnz .LBB4_822
.LBB4_823:                              ;   in Loop: Header=BB4_3 Depth=1
	s_or_b64 exec, exec, s[18:19]
	global_load_dwordx2 v[8:9], v43, s[2:3] offset:16
	s_mov_b64 s[20:21], exec
	v_mbcnt_lo_u32_b32 v2, s20, 0
	v_mbcnt_hi_u32_b32 v2, s21, v2
	v_cmp_eq_u32_e32 vcc, 0, v2
	s_and_saveexec_b64 s[18:19], vcc
	s_cbranch_execz .LBB4_825
; %bb.824:                              ;   in Loop: Header=BB4_3 Depth=1
	s_bcnt1_i32_b64 s20, s[20:21]
	v_mov_b32_e32 v2, s20
	buffer_wbl2
	s_waitcnt vmcnt(0)
	global_atomic_add_x2 v[8:9], v[2:3], off offset:8
.LBB4_825:                              ;   in Loop: Header=BB4_3 Depth=1
	s_or_b64 exec, exec, s[18:19]
	s_waitcnt vmcnt(0)
	global_load_dwordx2 v[10:11], v[8:9], off offset:16
	s_waitcnt vmcnt(0)
	v_cmp_eq_u64_e32 vcc, 0, v[10:11]
	s_cbranch_vccnz .LBB4_827
; %bb.826:                              ;   in Loop: Header=BB4_3 Depth=1
	global_load_dword v42, v[8:9], off offset:24
	s_waitcnt vmcnt(0)
	v_and_b32_e32 v2, 0xffffff, v42
	v_readfirstlane_b32 m0, v2
	buffer_wbl2
	global_store_dwordx2 v[10:11], v[42:43], off
	s_sendmsg sendmsg(MSG_INTERRUPT)
.LBB4_827:                              ;   in Loop: Header=BB4_3 Depth=1
	s_or_b64 exec, exec, s[16:17]
	v_add_co_u32_e32 v4, vcc, v4, v45
	v_addc_co_u32_e32 v5, vcc, 0, v1, vcc
	s_branch .LBB4_831
.LBB4_828:                              ;   in Loop: Header=BB4_831 Depth=2
	s_or_b64 exec, exec, s[16:17]
	v_readfirstlane_b32 s16, v1
	s_cmp_eq_u32 s16, 0
	s_cbranch_scc1 .LBB4_830
; %bb.829:                              ;   in Loop: Header=BB4_831 Depth=2
	s_sleep 1
	s_cbranch_execnz .LBB4_831
	s_branch .LBB4_833
.LBB4_830:                              ;   in Loop: Header=BB4_3 Depth=1
	s_branch .LBB4_833
.LBB4_831:                              ;   Parent Loop BB4_3 Depth=1
                                        ; =>  This Inner Loop Header: Depth=2
	v_mov_b32_e32 v1, 1
	s_and_saveexec_b64 s[16:17], s[0:1]
	s_cbranch_execz .LBB4_828
; %bb.832:                              ;   in Loop: Header=BB4_831 Depth=2
	global_load_dword v1, v[22:23], off offset:20 glc
	s_waitcnt vmcnt(0)
	buffer_invl2
	buffer_wbinvl1_vol
	v_and_b32_e32 v1, 1, v1
	s_branch .LBB4_828
.LBB4_833:                              ;   in Loop: Header=BB4_3 Depth=1
	global_load_dwordx2 v[34:35], v[4:5], off
	s_and_saveexec_b64 s[16:17], s[0:1]
	s_cbranch_execz .LBB4_837
; %bb.834:                              ;   in Loop: Header=BB4_3 Depth=1
	global_load_dwordx2 v[4:5], v43, s[2:3] offset:40
	global_load_dwordx2 v[12:13], v43, s[2:3] offset:24 glc
	global_load_dwordx2 v[16:17], v43, s[2:3]
	v_mov_b32_e32 v1, s15
	s_waitcnt vmcnt(2)
	v_add_co_u32_e32 v2, vcc, 1, v4
	v_addc_co_u32_e32 v11, vcc, 0, v5, vcc
	v_add_co_u32_e32 v8, vcc, s14, v2
	v_addc_co_u32_e32 v9, vcc, v11, v1, vcc
	v_cmp_eq_u64_e32 vcc, 0, v[8:9]
	v_cndmask_b32_e32 v9, v9, v11, vcc
	v_cndmask_b32_e32 v8, v8, v2, vcc
	v_and_b32_e32 v1, v9, v5
	v_and_b32_e32 v2, v8, v4
	v_mul_lo_u32 v1, v1, 24
	v_mul_hi_u32 v4, v2, 24
	v_mul_lo_u32 v2, v2, 24
	v_add_u32_e32 v1, v4, v1
	s_waitcnt vmcnt(0)
	v_add_co_u32_e32 v4, vcc, v16, v2
	v_addc_co_u32_e32 v5, vcc, v17, v1, vcc
	v_mov_b32_e32 v10, v12
	global_store_dwordx2 v[4:5], v[12:13], off
	v_mov_b32_e32 v11, v13
	buffer_wbl2
	s_waitcnt vmcnt(0)
	global_atomic_cmpswap_x2 v[10:11], v43, v[8:11], s[2:3] offset:24 glc
	s_waitcnt vmcnt(0)
	v_cmp_ne_u64_e32 vcc, v[10:11], v[12:13]
	s_and_b64 exec, exec, vcc
	s_cbranch_execz .LBB4_837
; %bb.835:                              ;   in Loop: Header=BB4_3 Depth=1
	s_mov_b64 s[0:1], 0
.LBB4_836:                              ;   Parent Loop BB4_3 Depth=1
                                        ; =>  This Inner Loop Header: Depth=2
	s_sleep 1
	global_store_dwordx2 v[4:5], v[10:11], off
	buffer_wbl2
	s_waitcnt vmcnt(0)
	global_atomic_cmpswap_x2 v[12:13], v43, v[8:11], s[2:3] offset:24 glc
	s_waitcnt vmcnt(0)
	v_cmp_eq_u64_e32 vcc, v[12:13], v[10:11]
	s_or_b64 s[0:1], vcc, s[0:1]
	v_pk_mov_b32 v[10:11], v[12:13], v[12:13] op_sel:[0,1]
	s_andn2_b64 exec, exec, s[0:1]
	s_cbranch_execnz .LBB4_836
.LBB4_837:                              ;   in Loop: Header=BB4_3 Depth=1
	s_or_b64 exec, exec, s[16:17]
	v_readfirstlane_b32 s0, v40
	v_cmp_eq_u32_e64 s[0:1], s0, v40
	v_pk_mov_b32 v[4:5], 0, 0
	s_and_saveexec_b64 s[14:15], s[0:1]
	s_cbranch_execz .LBB4_843
; %bb.838:                              ;   in Loop: Header=BB4_3 Depth=1
	global_load_dwordx2 v[10:11], v43, s[2:3] offset:24 glc
	s_waitcnt vmcnt(0)
	buffer_invl2
	buffer_wbinvl1_vol
	global_load_dwordx2 v[4:5], v43, s[2:3] offset:40
	global_load_dwordx2 v[8:9], v43, s[2:3]
	s_waitcnt vmcnt(1)
	v_and_b32_e32 v1, v4, v10
	v_and_b32_e32 v2, v5, v11
	v_mul_lo_u32 v2, v2, 24
	v_mul_hi_u32 v4, v1, 24
	v_mul_lo_u32 v1, v1, 24
	v_add_u32_e32 v2, v4, v2
	s_waitcnt vmcnt(0)
	v_add_co_u32_e32 v4, vcc, v8, v1
	v_addc_co_u32_e32 v5, vcc, v9, v2, vcc
	global_load_dwordx2 v[8:9], v[4:5], off glc
	s_waitcnt vmcnt(0)
	global_atomic_cmpswap_x2 v[4:5], v43, v[8:11], s[2:3] offset:24 glc
	s_waitcnt vmcnt(0)
	buffer_invl2
	buffer_wbinvl1_vol
	v_cmp_ne_u64_e32 vcc, v[4:5], v[10:11]
	s_and_saveexec_b64 s[16:17], vcc
	s_cbranch_execz .LBB4_842
; %bb.839:                              ;   in Loop: Header=BB4_3 Depth=1
	s_mov_b64 s[18:19], 0
.LBB4_840:                              ;   Parent Loop BB4_3 Depth=1
                                        ; =>  This Inner Loop Header: Depth=2
	s_sleep 1
	global_load_dwordx2 v[8:9], v43, s[2:3] offset:40
	global_load_dwordx2 v[12:13], v43, s[2:3]
	v_pk_mov_b32 v[10:11], v[4:5], v[4:5] op_sel:[0,1]
	s_waitcnt vmcnt(1)
	v_and_b32_e32 v2, v8, v10
	s_waitcnt vmcnt(0)
	v_mad_u64_u32 v[4:5], s[20:21], v2, 24, v[12:13]
	v_and_b32_e32 v1, v9, v11
	v_mov_b32_e32 v2, v5
	v_mad_u64_u32 v[8:9], s[20:21], v1, 24, v[2:3]
	v_mov_b32_e32 v5, v8
	global_load_dwordx2 v[8:9], v[4:5], off glc
	s_waitcnt vmcnt(0)
	global_atomic_cmpswap_x2 v[4:5], v43, v[8:11], s[2:3] offset:24 glc
	s_waitcnt vmcnt(0)
	buffer_invl2
	buffer_wbinvl1_vol
	v_cmp_eq_u64_e32 vcc, v[4:5], v[10:11]
	s_or_b64 s[18:19], vcc, s[18:19]
	s_andn2_b64 exec, exec, s[18:19]
	s_cbranch_execnz .LBB4_840
; %bb.841:                              ;   in Loop: Header=BB4_3 Depth=1
	s_or_b64 exec, exec, s[18:19]
.LBB4_842:                              ;   in Loop: Header=BB4_3 Depth=1
	s_or_b64 exec, exec, s[16:17]
.LBB4_843:                              ;   in Loop: Header=BB4_3 Depth=1
	s_or_b64 exec, exec, s[14:15]
	global_load_dwordx2 v[12:13], v43, s[2:3] offset:40
	global_load_dwordx4 v[8:11], v43, s[2:3]
	v_readfirstlane_b32 s14, v4
	v_readfirstlane_b32 s15, v5
	s_mov_b64 s[16:17], exec
	s_waitcnt vmcnt(1)
	v_readfirstlane_b32 s18, v12
	v_readfirstlane_b32 s19, v13
	s_and_b64 s[18:19], s[14:15], s[18:19]
	s_mul_i32 s20, s19, 24
	s_mul_hi_u32 s21, s18, 24
	s_mul_i32 s22, s18, 24
	s_add_i32 s20, s21, s20
	v_mov_b32_e32 v1, s20
	s_waitcnt vmcnt(0)
	v_add_co_u32_e32 v12, vcc, s22, v8
	v_addc_co_u32_e32 v13, vcc, v9, v1, vcc
	s_and_saveexec_b64 s[20:21], s[0:1]
	s_cbranch_execz .LBB4_845
; %bb.844:                              ;   in Loop: Header=BB4_3 Depth=1
	v_pk_mov_b32 v[4:5], s[16:17], s[16:17] op_sel:[0,1]
	global_store_dwordx4 v[12:13], v[4:7], off offset:8
.LBB4_845:                              ;   in Loop: Header=BB4_3 Depth=1
	s_or_b64 exec, exec, s[20:21]
	s_lshl_b64 s[16:17], s[18:19], 12
	v_mov_b32_e32 v1, s17
	v_add_co_u32_e32 v4, vcc, s16, v10
	v_addc_co_u32_e32 v5, vcc, v11, v1, vcc
	v_pk_mov_b32 v[18:19], s[10:11], s[10:11] op_sel:[0,1]
	v_mov_b32_e32 v1, v3
	v_mov_b32_e32 v2, v3
	v_readfirstlane_b32 s16, v4
	v_readfirstlane_b32 s17, v5
	v_pk_mov_b32 v[16:17], s[8:9], s[8:9] op_sel:[0,1]
	s_nop 3
	global_store_dwordx4 v45, v[0:3], s[16:17]
	global_store_dwordx4 v45, v[16:19], s[16:17] offset:16
	global_store_dwordx4 v45, v[16:19], s[16:17] offset:32
	;; [unrolled: 1-line block ×3, first 2 shown]
	s_and_saveexec_b64 s[16:17], s[0:1]
	s_cbranch_execz .LBB4_853
; %bb.846:                              ;   in Loop: Header=BB4_3 Depth=1
	global_load_dwordx2 v[20:21], v43, s[2:3] offset:32 glc
	global_load_dwordx2 v[10:11], v43, s[2:3] offset:40
	v_mov_b32_e32 v18, s14
	v_mov_b32_e32 v19, s15
	s_waitcnt vmcnt(0)
	v_readfirstlane_b32 s18, v10
	v_readfirstlane_b32 s19, v11
	s_and_b64 s[18:19], s[18:19], s[14:15]
	s_mul_i32 s19, s19, 24
	s_mul_hi_u32 s20, s18, 24
	s_mul_i32 s18, s18, 24
	s_add_i32 s19, s20, s19
	v_mov_b32_e32 v1, s19
	v_add_co_u32_e32 v16, vcc, s18, v8
	v_addc_co_u32_e32 v17, vcc, v9, v1, vcc
	global_store_dwordx2 v[16:17], v[20:21], off
	buffer_wbl2
	s_waitcnt vmcnt(0)
	global_atomic_cmpswap_x2 v[10:11], v43, v[18:21], s[2:3] offset:32 glc
	s_waitcnt vmcnt(0)
	v_cmp_ne_u64_e32 vcc, v[10:11], v[20:21]
	s_and_saveexec_b64 s[18:19], vcc
	s_cbranch_execz .LBB4_849
; %bb.847:                              ;   in Loop: Header=BB4_3 Depth=1
	s_mov_b64 s[20:21], 0
.LBB4_848:                              ;   Parent Loop BB4_3 Depth=1
                                        ; =>  This Inner Loop Header: Depth=2
	s_sleep 1
	global_store_dwordx2 v[16:17], v[10:11], off
	v_mov_b32_e32 v8, s14
	v_mov_b32_e32 v9, s15
	buffer_wbl2
	s_waitcnt vmcnt(0)
	global_atomic_cmpswap_x2 v[8:9], v43, v[8:11], s[2:3] offset:32 glc
	s_waitcnt vmcnt(0)
	v_cmp_eq_u64_e32 vcc, v[8:9], v[10:11]
	s_or_b64 s[20:21], vcc, s[20:21]
	v_pk_mov_b32 v[10:11], v[8:9], v[8:9] op_sel:[0,1]
	s_andn2_b64 exec, exec, s[20:21]
	s_cbranch_execnz .LBB4_848
.LBB4_849:                              ;   in Loop: Header=BB4_3 Depth=1
	s_or_b64 exec, exec, s[18:19]
	global_load_dwordx2 v[8:9], v43, s[2:3] offset:16
	s_mov_b64 s[20:21], exec
	v_mbcnt_lo_u32_b32 v1, s20, 0
	v_mbcnt_hi_u32_b32 v1, s21, v1
	v_cmp_eq_u32_e32 vcc, 0, v1
	s_and_saveexec_b64 s[18:19], vcc
	s_cbranch_execz .LBB4_851
; %bb.850:                              ;   in Loop: Header=BB4_3 Depth=1
	s_bcnt1_i32_b64 s20, s[20:21]
	v_mov_b32_e32 v2, s20
	buffer_wbl2
	s_waitcnt vmcnt(0)
	global_atomic_add_x2 v[8:9], v[2:3], off offset:8
.LBB4_851:                              ;   in Loop: Header=BB4_3 Depth=1
	s_or_b64 exec, exec, s[18:19]
	s_waitcnt vmcnt(0)
	global_load_dwordx2 v[10:11], v[8:9], off offset:16
	s_waitcnt vmcnt(0)
	v_cmp_eq_u64_e32 vcc, 0, v[10:11]
	s_cbranch_vccnz .LBB4_853
; %bb.852:                              ;   in Loop: Header=BB4_3 Depth=1
	global_load_dword v42, v[8:9], off offset:24
	s_waitcnt vmcnt(0)
	v_and_b32_e32 v1, 0xffffff, v42
	v_readfirstlane_b32 m0, v1
	buffer_wbl2
	global_store_dwordx2 v[10:11], v[42:43], off
	s_sendmsg sendmsg(MSG_INTERRUPT)
.LBB4_853:                              ;   in Loop: Header=BB4_3 Depth=1
	s_or_b64 exec, exec, s[16:17]
	v_add_co_u32_e32 v4, vcc, v4, v45
	v_addc_co_u32_e32 v5, vcc, 0, v5, vcc
	s_branch .LBB4_857
.LBB4_854:                              ;   in Loop: Header=BB4_857 Depth=2
	s_or_b64 exec, exec, s[16:17]
	v_readfirstlane_b32 s16, v1
	s_cmp_eq_u32 s16, 0
	s_cbranch_scc1 .LBB4_856
; %bb.855:                              ;   in Loop: Header=BB4_857 Depth=2
	s_sleep 1
	s_cbranch_execnz .LBB4_857
	s_branch .LBB4_859
.LBB4_856:                              ;   in Loop: Header=BB4_3 Depth=1
	s_branch .LBB4_859
.LBB4_857:                              ;   Parent Loop BB4_3 Depth=1
                                        ; =>  This Inner Loop Header: Depth=2
	v_mov_b32_e32 v1, 1
	s_and_saveexec_b64 s[16:17], s[0:1]
	s_cbranch_execz .LBB4_854
; %bb.858:                              ;   in Loop: Header=BB4_857 Depth=2
	global_load_dword v1, v[12:13], off offset:20 glc
	s_waitcnt vmcnt(0)
	buffer_invl2
	buffer_wbinvl1_vol
	v_and_b32_e32 v1, 1, v1
	s_branch .LBB4_854
.LBB4_859:                              ;   in Loop: Header=BB4_3 Depth=1
	global_load_dwordx2 v[16:17], v[4:5], off
	s_and_saveexec_b64 s[16:17], s[0:1]
	s_cbranch_execz .LBB4_863
; %bb.860:                              ;   in Loop: Header=BB4_3 Depth=1
	global_load_dwordx2 v[4:5], v43, s[2:3] offset:40
	global_load_dwordx2 v[12:13], v43, s[2:3] offset:24 glc
	global_load_dwordx2 v[18:19], v43, s[2:3]
	v_mov_b32_e32 v1, s15
	s_waitcnt vmcnt(2)
	v_add_co_u32_e32 v2, vcc, 1, v4
	v_addc_co_u32_e32 v11, vcc, 0, v5, vcc
	v_add_co_u32_e32 v8, vcc, s14, v2
	v_addc_co_u32_e32 v9, vcc, v11, v1, vcc
	v_cmp_eq_u64_e32 vcc, 0, v[8:9]
	v_cndmask_b32_e32 v9, v9, v11, vcc
	v_cndmask_b32_e32 v8, v8, v2, vcc
	v_and_b32_e32 v1, v9, v5
	v_and_b32_e32 v2, v8, v4
	v_mul_lo_u32 v1, v1, 24
	v_mul_hi_u32 v4, v2, 24
	v_mul_lo_u32 v2, v2, 24
	v_add_u32_e32 v1, v4, v1
	s_waitcnt vmcnt(0)
	v_add_co_u32_e32 v4, vcc, v18, v2
	v_addc_co_u32_e32 v5, vcc, v19, v1, vcc
	v_mov_b32_e32 v10, v12
	global_store_dwordx2 v[4:5], v[12:13], off
	v_mov_b32_e32 v11, v13
	buffer_wbl2
	s_waitcnt vmcnt(0)
	global_atomic_cmpswap_x2 v[10:11], v43, v[8:11], s[2:3] offset:24 glc
	s_waitcnt vmcnt(0)
	v_cmp_ne_u64_e32 vcc, v[10:11], v[12:13]
	s_and_b64 exec, exec, vcc
	s_cbranch_execz .LBB4_863
; %bb.861:                              ;   in Loop: Header=BB4_3 Depth=1
	s_mov_b64 s[0:1], 0
.LBB4_862:                              ;   Parent Loop BB4_3 Depth=1
                                        ; =>  This Inner Loop Header: Depth=2
	s_sleep 1
	global_store_dwordx2 v[4:5], v[10:11], off
	buffer_wbl2
	s_waitcnt vmcnt(0)
	global_atomic_cmpswap_x2 v[12:13], v43, v[8:11], s[2:3] offset:24 glc
	s_waitcnt vmcnt(0)
	v_cmp_eq_u64_e32 vcc, v[12:13], v[10:11]
	s_or_b64 s[0:1], vcc, s[0:1]
	v_pk_mov_b32 v[10:11], v[12:13], v[12:13] op_sel:[0,1]
	s_andn2_b64 exec, exec, s[0:1]
	s_cbranch_execnz .LBB4_862
.LBB4_863:                              ;   in Loop: Header=BB4_3 Depth=1
	s_or_b64 exec, exec, s[16:17]
	s_and_b64 vcc, exec, s[6:7]
	s_cbranch_vccz .LBB4_1033
; %bb.864:                              ;   in Loop: Header=BB4_3 Depth=1
	s_waitcnt vmcnt(0)
	v_and_b32_e32 v36, 2, v16
	v_and_b32_e32 v8, -3, v16
	v_mov_b32_e32 v9, v17
	s_mov_b64 s[16:17], 6
	s_getpc_b64 s[14:15]
	s_add_u32 s14, s14, .str.7@rel32@lo+4
	s_addc_u32 s15, s15, .str.7@rel32@hi+12
	s_branch .LBB4_866
.LBB4_865:                              ;   in Loop: Header=BB4_866 Depth=2
	s_or_b64 exec, exec, s[22:23]
	s_sub_u32 s16, s16, s18
	s_subb_u32 s17, s17, s19
	s_add_u32 s14, s14, s18
	s_addc_u32 s15, s15, s19
	s_cmp_lg_u64 s[16:17], 0
	s_cbranch_scc0 .LBB4_947
.LBB4_866:                              ;   Parent Loop BB4_3 Depth=1
                                        ; =>  This Loop Header: Depth=2
                                        ;       Child Loop BB4_869 Depth 3
                                        ;       Child Loop BB4_876 Depth 3
	;; [unrolled: 1-line block ×11, first 2 shown]
	v_cmp_lt_u64_e64 s[0:1], s[16:17], 56
	s_and_b64 s[0:1], s[0:1], exec
	v_cmp_gt_u64_e64 s[0:1], s[16:17], 7
	s_cselect_b32 s19, s17, 0
	s_cselect_b32 s18, s16, 56
	s_and_b64 vcc, exec, s[0:1]
	s_cbranch_vccnz .LBB4_871
; %bb.867:                              ;   in Loop: Header=BB4_866 Depth=2
	s_mov_b64 s[0:1], 0
	s_cmp_eq_u64 s[16:17], 0
	s_waitcnt vmcnt(0)
	v_pk_mov_b32 v[10:11], 0, 0
	s_cbranch_scc1 .LBB4_870
; %bb.868:                              ;   in Loop: Header=BB4_866 Depth=2
	s_lshl_b64 s[20:21], s[18:19], 3
	s_mov_b64 s[22:23], 0
	v_pk_mov_b32 v[10:11], 0, 0
	s_mov_b64 s[24:25], s[14:15]
.LBB4_869:                              ;   Parent Loop BB4_3 Depth=1
                                        ;     Parent Loop BB4_866 Depth=2
                                        ; =>    This Inner Loop Header: Depth=3
	global_load_ubyte v1, v43, s[24:25]
	s_waitcnt vmcnt(0)
	v_and_b32_e32 v42, 0xffff, v1
	v_lshlrev_b64 v[4:5], s22, v[42:43]
	s_add_u32 s22, s22, 8
	s_addc_u32 s23, s23, 0
	s_add_u32 s24, s24, 1
	s_addc_u32 s25, s25, 0
	v_or_b32_e32 v10, v4, v10
	s_cmp_lg_u32 s20, s22
	v_or_b32_e32 v11, v5, v11
	s_cbranch_scc1 .LBB4_869
.LBB4_870:                              ;   in Loop: Header=BB4_866 Depth=2
	s_mov_b32 s24, 0
	s_andn2_b64 vcc, exec, s[0:1]
	s_mov_b64 s[0:1], s[14:15]
	s_cbranch_vccz .LBB4_872
	s_branch .LBB4_873
.LBB4_871:                              ;   in Loop: Header=BB4_866 Depth=2
                                        ; implicit-def: $vgpr10_vgpr11
                                        ; implicit-def: $sgpr24
	s_mov_b64 s[0:1], s[14:15]
.LBB4_872:                              ;   in Loop: Header=BB4_866 Depth=2
	global_load_dwordx2 v[10:11], v43, s[14:15]
	s_add_i32 s24, s18, -8
	s_add_u32 s0, s14, 8
	s_addc_u32 s1, s15, 0
.LBB4_873:                              ;   in Loop: Header=BB4_866 Depth=2
	s_cmp_gt_u32 s24, 7
	s_cbranch_scc1 .LBB4_877
; %bb.874:                              ;   in Loop: Header=BB4_866 Depth=2
	s_cmp_eq_u32 s24, 0
	s_cbranch_scc1 .LBB4_878
; %bb.875:                              ;   in Loop: Header=BB4_866 Depth=2
	s_mov_b64 s[20:21], 0
	v_pk_mov_b32 v[18:19], 0, 0
	s_mov_b64 s[22:23], 0
.LBB4_876:                              ;   Parent Loop BB4_3 Depth=1
                                        ;     Parent Loop BB4_866 Depth=2
                                        ; =>    This Inner Loop Header: Depth=3
	s_add_u32 s26, s0, s22
	s_addc_u32 s27, s1, s23
	global_load_ubyte v1, v43, s[26:27]
	s_add_u32 s22, s22, 1
	s_addc_u32 s23, s23, 0
	s_waitcnt vmcnt(0)
	v_and_b32_e32 v42, 0xffff, v1
	v_lshlrev_b64 v[4:5], s20, v[42:43]
	s_add_u32 s20, s20, 8
	s_addc_u32 s21, s21, 0
	v_or_b32_e32 v18, v4, v18
	s_cmp_lg_u32 s24, s22
	v_or_b32_e32 v19, v5, v19
	s_cbranch_scc1 .LBB4_876
	s_branch .LBB4_879
.LBB4_877:                              ;   in Loop: Header=BB4_866 Depth=2
                                        ; implicit-def: $vgpr18_vgpr19
                                        ; implicit-def: $sgpr25
	s_branch .LBB4_880
.LBB4_878:                              ;   in Loop: Header=BB4_866 Depth=2
	v_pk_mov_b32 v[18:19], 0, 0
.LBB4_879:                              ;   in Loop: Header=BB4_866 Depth=2
	s_mov_b32 s25, 0
	s_cbranch_execnz .LBB4_881
.LBB4_880:                              ;   in Loop: Header=BB4_866 Depth=2
	global_load_dwordx2 v[18:19], v43, s[0:1]
	s_add_i32 s25, s24, -8
	s_add_u32 s0, s0, 8
	s_addc_u32 s1, s1, 0
.LBB4_881:                              ;   in Loop: Header=BB4_866 Depth=2
	s_cmp_gt_u32 s25, 7
	s_cbranch_scc1 .LBB4_885
; %bb.882:                              ;   in Loop: Header=BB4_866 Depth=2
	s_cmp_eq_u32 s25, 0
	s_cbranch_scc1 .LBB4_886
; %bb.883:                              ;   in Loop: Header=BB4_866 Depth=2
	s_mov_b64 s[20:21], 0
	v_pk_mov_b32 v[20:21], 0, 0
	s_mov_b64 s[22:23], 0
.LBB4_884:                              ;   Parent Loop BB4_3 Depth=1
                                        ;     Parent Loop BB4_866 Depth=2
                                        ; =>    This Inner Loop Header: Depth=3
	s_add_u32 s26, s0, s22
	s_addc_u32 s27, s1, s23
	global_load_ubyte v1, v43, s[26:27]
	s_add_u32 s22, s22, 1
	s_addc_u32 s23, s23, 0
	s_waitcnt vmcnt(0)
	v_and_b32_e32 v42, 0xffff, v1
	v_lshlrev_b64 v[4:5], s20, v[42:43]
	s_add_u32 s20, s20, 8
	s_addc_u32 s21, s21, 0
	v_or_b32_e32 v20, v4, v20
	s_cmp_lg_u32 s25, s22
	v_or_b32_e32 v21, v5, v21
	s_cbranch_scc1 .LBB4_884
	s_branch .LBB4_887
.LBB4_885:                              ;   in Loop: Header=BB4_866 Depth=2
                                        ; implicit-def: $sgpr24
	s_branch .LBB4_888
.LBB4_886:                              ;   in Loop: Header=BB4_866 Depth=2
	v_pk_mov_b32 v[20:21], 0, 0
.LBB4_887:                              ;   in Loop: Header=BB4_866 Depth=2
	s_mov_b32 s24, 0
	s_cbranch_execnz .LBB4_889
.LBB4_888:                              ;   in Loop: Header=BB4_866 Depth=2
	global_load_dwordx2 v[20:21], v43, s[0:1]
	s_add_i32 s24, s25, -8
	s_add_u32 s0, s0, 8
	s_addc_u32 s1, s1, 0
.LBB4_889:                              ;   in Loop: Header=BB4_866 Depth=2
	s_cmp_gt_u32 s24, 7
	s_cbranch_scc1 .LBB4_893
; %bb.890:                              ;   in Loop: Header=BB4_866 Depth=2
	s_cmp_eq_u32 s24, 0
	s_cbranch_scc1 .LBB4_894
; %bb.891:                              ;   in Loop: Header=BB4_866 Depth=2
	s_mov_b64 s[20:21], 0
	v_pk_mov_b32 v[22:23], 0, 0
	s_mov_b64 s[22:23], 0
.LBB4_892:                              ;   Parent Loop BB4_3 Depth=1
                                        ;     Parent Loop BB4_866 Depth=2
                                        ; =>    This Inner Loop Header: Depth=3
	s_add_u32 s26, s0, s22
	s_addc_u32 s27, s1, s23
	global_load_ubyte v1, v43, s[26:27]
	s_add_u32 s22, s22, 1
	s_addc_u32 s23, s23, 0
	s_waitcnt vmcnt(0)
	v_and_b32_e32 v42, 0xffff, v1
	v_lshlrev_b64 v[4:5], s20, v[42:43]
	s_add_u32 s20, s20, 8
	s_addc_u32 s21, s21, 0
	v_or_b32_e32 v22, v4, v22
	s_cmp_lg_u32 s24, s22
	v_or_b32_e32 v23, v5, v23
	s_cbranch_scc1 .LBB4_892
	s_branch .LBB4_895
.LBB4_893:                              ;   in Loop: Header=BB4_866 Depth=2
                                        ; implicit-def: $vgpr22_vgpr23
                                        ; implicit-def: $sgpr25
	s_branch .LBB4_896
.LBB4_894:                              ;   in Loop: Header=BB4_866 Depth=2
	v_pk_mov_b32 v[22:23], 0, 0
.LBB4_895:                              ;   in Loop: Header=BB4_866 Depth=2
	s_mov_b32 s25, 0
	s_cbranch_execnz .LBB4_897
.LBB4_896:                              ;   in Loop: Header=BB4_866 Depth=2
	global_load_dwordx2 v[22:23], v43, s[0:1]
	s_add_i32 s25, s24, -8
	s_add_u32 s0, s0, 8
	s_addc_u32 s1, s1, 0
.LBB4_897:                              ;   in Loop: Header=BB4_866 Depth=2
	s_cmp_gt_u32 s25, 7
	s_cbranch_scc1 .LBB4_901
; %bb.898:                              ;   in Loop: Header=BB4_866 Depth=2
	s_cmp_eq_u32 s25, 0
	s_cbranch_scc1 .LBB4_902
; %bb.899:                              ;   in Loop: Header=BB4_866 Depth=2
	s_mov_b64 s[20:21], 0
	v_pk_mov_b32 v[24:25], 0, 0
	s_mov_b64 s[22:23], 0
.LBB4_900:                              ;   Parent Loop BB4_3 Depth=1
                                        ;     Parent Loop BB4_866 Depth=2
                                        ; =>    This Inner Loop Header: Depth=3
	s_add_u32 s26, s0, s22
	s_addc_u32 s27, s1, s23
	global_load_ubyte v1, v43, s[26:27]
	s_add_u32 s22, s22, 1
	s_addc_u32 s23, s23, 0
	s_waitcnt vmcnt(0)
	v_and_b32_e32 v42, 0xffff, v1
	v_lshlrev_b64 v[4:5], s20, v[42:43]
	s_add_u32 s20, s20, 8
	s_addc_u32 s21, s21, 0
	v_or_b32_e32 v24, v4, v24
	s_cmp_lg_u32 s25, s22
	v_or_b32_e32 v25, v5, v25
	s_cbranch_scc1 .LBB4_900
	s_branch .LBB4_903
.LBB4_901:                              ;   in Loop: Header=BB4_866 Depth=2
                                        ; implicit-def: $sgpr24
	s_branch .LBB4_904
.LBB4_902:                              ;   in Loop: Header=BB4_866 Depth=2
	v_pk_mov_b32 v[24:25], 0, 0
.LBB4_903:                              ;   in Loop: Header=BB4_866 Depth=2
	s_mov_b32 s24, 0
	s_cbranch_execnz .LBB4_905
.LBB4_904:                              ;   in Loop: Header=BB4_866 Depth=2
	global_load_dwordx2 v[24:25], v43, s[0:1]
	s_add_i32 s24, s25, -8
	s_add_u32 s0, s0, 8
	s_addc_u32 s1, s1, 0
.LBB4_905:                              ;   in Loop: Header=BB4_866 Depth=2
	s_cmp_gt_u32 s24, 7
	s_cbranch_scc1 .LBB4_909
; %bb.906:                              ;   in Loop: Header=BB4_866 Depth=2
	s_cmp_eq_u32 s24, 0
	s_cbranch_scc1 .LBB4_910
; %bb.907:                              ;   in Loop: Header=BB4_866 Depth=2
	s_mov_b64 s[20:21], 0
	v_pk_mov_b32 v[26:27], 0, 0
	s_mov_b64 s[22:23], 0
.LBB4_908:                              ;   Parent Loop BB4_3 Depth=1
                                        ;     Parent Loop BB4_866 Depth=2
                                        ; =>    This Inner Loop Header: Depth=3
	s_add_u32 s26, s0, s22
	s_addc_u32 s27, s1, s23
	global_load_ubyte v1, v43, s[26:27]
	s_add_u32 s22, s22, 1
	s_addc_u32 s23, s23, 0
	s_waitcnt vmcnt(0)
	v_and_b32_e32 v42, 0xffff, v1
	v_lshlrev_b64 v[4:5], s20, v[42:43]
	s_add_u32 s20, s20, 8
	s_addc_u32 s21, s21, 0
	v_or_b32_e32 v26, v4, v26
	s_cmp_lg_u32 s24, s22
	v_or_b32_e32 v27, v5, v27
	s_cbranch_scc1 .LBB4_908
	s_branch .LBB4_911
.LBB4_909:                              ;   in Loop: Header=BB4_866 Depth=2
                                        ; implicit-def: $vgpr26_vgpr27
                                        ; implicit-def: $sgpr25
	s_branch .LBB4_912
.LBB4_910:                              ;   in Loop: Header=BB4_866 Depth=2
	v_pk_mov_b32 v[26:27], 0, 0
.LBB4_911:                              ;   in Loop: Header=BB4_866 Depth=2
	s_mov_b32 s25, 0
	s_cbranch_execnz .LBB4_913
.LBB4_912:                              ;   in Loop: Header=BB4_866 Depth=2
	global_load_dwordx2 v[26:27], v43, s[0:1]
	s_add_i32 s25, s24, -8
	s_add_u32 s0, s0, 8
	s_addc_u32 s1, s1, 0
.LBB4_913:                              ;   in Loop: Header=BB4_866 Depth=2
	s_cmp_gt_u32 s25, 7
	s_cbranch_scc1 .LBB4_917
; %bb.914:                              ;   in Loop: Header=BB4_866 Depth=2
	s_cmp_eq_u32 s25, 0
	s_cbranch_scc1 .LBB4_918
; %bb.915:                              ;   in Loop: Header=BB4_866 Depth=2
	s_mov_b64 s[20:21], 0
	v_pk_mov_b32 v[28:29], 0, 0
	s_mov_b64 s[22:23], s[0:1]
.LBB4_916:                              ;   Parent Loop BB4_3 Depth=1
                                        ;     Parent Loop BB4_866 Depth=2
                                        ; =>    This Inner Loop Header: Depth=3
	global_load_ubyte v1, v43, s[22:23]
	s_add_i32 s25, s25, -1
	s_waitcnt vmcnt(0)
	v_and_b32_e32 v42, 0xffff, v1
	v_lshlrev_b64 v[4:5], s20, v[42:43]
	s_add_u32 s20, s20, 8
	s_addc_u32 s21, s21, 0
	s_add_u32 s22, s22, 1
	s_addc_u32 s23, s23, 0
	v_or_b32_e32 v28, v4, v28
	s_cmp_lg_u32 s25, 0
	v_or_b32_e32 v29, v5, v29
	s_cbranch_scc1 .LBB4_916
	s_branch .LBB4_919
.LBB4_917:                              ;   in Loop: Header=BB4_866 Depth=2
	s_branch .LBB4_920
.LBB4_918:                              ;   in Loop: Header=BB4_866 Depth=2
	v_pk_mov_b32 v[28:29], 0, 0
.LBB4_919:                              ;   in Loop: Header=BB4_866 Depth=2
	s_cbranch_execnz .LBB4_921
.LBB4_920:                              ;   in Loop: Header=BB4_866 Depth=2
	global_load_dwordx2 v[28:29], v43, s[0:1]
.LBB4_921:                              ;   in Loop: Header=BB4_866 Depth=2
	v_readfirstlane_b32 s0, v40
	v_cmp_eq_u32_e64 s[0:1], s0, v40
	v_pk_mov_b32 v[4:5], 0, 0
	s_and_saveexec_b64 s[20:21], s[0:1]
	s_cbranch_execz .LBB4_927
; %bb.922:                              ;   in Loop: Header=BB4_866 Depth=2
	global_load_dwordx2 v[32:33], v43, s[2:3] offset:24 glc
	s_waitcnt vmcnt(0)
	buffer_invl2
	buffer_wbinvl1_vol
	global_load_dwordx2 v[4:5], v43, s[2:3] offset:40
	global_load_dwordx2 v[12:13], v43, s[2:3]
	s_waitcnt vmcnt(1)
	v_and_b32_e32 v1, v4, v32
	v_and_b32_e32 v2, v5, v33
	v_mul_lo_u32 v2, v2, 24
	v_mul_hi_u32 v4, v1, 24
	v_mul_lo_u32 v1, v1, 24
	v_add_u32_e32 v2, v4, v2
	s_waitcnt vmcnt(0)
	v_add_co_u32_e32 v4, vcc, v12, v1
	v_addc_co_u32_e32 v5, vcc, v13, v2, vcc
	global_load_dwordx2 v[30:31], v[4:5], off glc
	s_waitcnt vmcnt(0)
	global_atomic_cmpswap_x2 v[4:5], v43, v[30:33], s[2:3] offset:24 glc
	s_waitcnt vmcnt(0)
	buffer_invl2
	buffer_wbinvl1_vol
	v_cmp_ne_u64_e32 vcc, v[4:5], v[32:33]
	s_and_saveexec_b64 s[22:23], vcc
	s_cbranch_execz .LBB4_926
; %bb.923:                              ;   in Loop: Header=BB4_866 Depth=2
	s_mov_b64 s[24:25], 0
.LBB4_924:                              ;   Parent Loop BB4_3 Depth=1
                                        ;     Parent Loop BB4_866 Depth=2
                                        ; =>    This Inner Loop Header: Depth=3
	s_sleep 1
	global_load_dwordx2 v[12:13], v43, s[2:3] offset:40
	global_load_dwordx2 v[30:31], v43, s[2:3]
	v_pk_mov_b32 v[32:33], v[4:5], v[4:5] op_sel:[0,1]
	s_waitcnt vmcnt(1)
	v_and_b32_e32 v2, v12, v32
	s_waitcnt vmcnt(0)
	v_mad_u64_u32 v[4:5], s[26:27], v2, 24, v[30:31]
	v_and_b32_e32 v1, v13, v33
	v_mov_b32_e32 v2, v5
	v_mad_u64_u32 v[12:13], s[26:27], v1, 24, v[2:3]
	v_mov_b32_e32 v5, v12
	global_load_dwordx2 v[30:31], v[4:5], off glc
	s_waitcnt vmcnt(0)
	global_atomic_cmpswap_x2 v[4:5], v43, v[30:33], s[2:3] offset:24 glc
	s_waitcnt vmcnt(0)
	buffer_invl2
	buffer_wbinvl1_vol
	v_cmp_eq_u64_e32 vcc, v[4:5], v[32:33]
	s_or_b64 s[24:25], vcc, s[24:25]
	s_andn2_b64 exec, exec, s[24:25]
	s_cbranch_execnz .LBB4_924
; %bb.925:                              ;   in Loop: Header=BB4_866 Depth=2
	s_or_b64 exec, exec, s[24:25]
.LBB4_926:                              ;   in Loop: Header=BB4_866 Depth=2
	s_or_b64 exec, exec, s[22:23]
.LBB4_927:                              ;   in Loop: Header=BB4_866 Depth=2
	s_or_b64 exec, exec, s[20:21]
	global_load_dwordx2 v[12:13], v43, s[2:3] offset:40
	global_load_dwordx4 v[30:33], v43, s[2:3]
	v_readfirstlane_b32 s20, v4
	v_readfirstlane_b32 s21, v5
	s_mov_b64 s[22:23], exec
	s_waitcnt vmcnt(1)
	v_readfirstlane_b32 s24, v12
	v_readfirstlane_b32 s25, v13
	s_and_b64 s[24:25], s[20:21], s[24:25]
	s_mul_i32 s26, s25, 24
	s_mul_hi_u32 s27, s24, 24
	s_mul_i32 s33, s24, 24
	s_add_i32 s26, s27, s26
	v_mov_b32_e32 v1, s26
	s_waitcnt vmcnt(0)
	v_add_co_u32_e32 v12, vcc, s33, v30
	v_addc_co_u32_e32 v13, vcc, v31, v1, vcc
	s_and_saveexec_b64 s[26:27], s[0:1]
	s_cbranch_execz .LBB4_929
; %bb.928:                              ;   in Loop: Header=BB4_866 Depth=2
	v_pk_mov_b32 v[4:5], s[22:23], s[22:23] op_sel:[0,1]
	global_store_dwordx4 v[12:13], v[4:7], off offset:8
.LBB4_929:                              ;   in Loop: Header=BB4_866 Depth=2
	s_or_b64 exec, exec, s[26:27]
	s_lshl_b64 s[22:23], s[24:25], 12
	v_mov_b32_e32 v1, s23
	v_add_co_u32_e32 v4, vcc, s22, v32
	v_addc_co_u32_e32 v1, vcc, v33, v1, vcc
	v_or_b32_e32 v2, 0, v9
	v_or_b32_e32 v5, v8, v36
	v_cmp_gt_u64_e64 vcc, s[16:17], 56
	s_lshl_b32 s22, s18, 2
	v_cndmask_b32_e32 v9, v2, v9, vcc
	v_cndmask_b32_e32 v2, v5, v8, vcc
	s_add_i32 s22, s22, 28
	s_and_b32 s22, s22, 0x1e0
	v_and_b32_e32 v2, 0xffffff1f, v2
	v_or_b32_e32 v8, s22, v2
	v_readfirstlane_b32 s22, v4
	v_readfirstlane_b32 s23, v1
	s_nop 4
	global_store_dwordx4 v45, v[8:11], s[22:23]
	global_store_dwordx4 v45, v[18:21], s[22:23] offset:16
	global_store_dwordx4 v45, v[22:25], s[22:23] offset:32
	;; [unrolled: 1-line block ×3, first 2 shown]
	s_and_saveexec_b64 s[22:23], s[0:1]
	s_cbranch_execz .LBB4_937
; %bb.930:                              ;   in Loop: Header=BB4_866 Depth=2
	global_load_dwordx2 v[22:23], v43, s[2:3] offset:32 glc
	global_load_dwordx2 v[8:9], v43, s[2:3] offset:40
	v_mov_b32_e32 v20, s20
	v_mov_b32_e32 v21, s21
	s_waitcnt vmcnt(0)
	v_readfirstlane_b32 s24, v8
	v_readfirstlane_b32 s25, v9
	s_and_b64 s[24:25], s[24:25], s[20:21]
	s_mul_i32 s25, s25, 24
	s_mul_hi_u32 s26, s24, 24
	s_mul_i32 s24, s24, 24
	s_add_i32 s25, s26, s25
	v_mov_b32_e32 v2, s25
	v_add_co_u32_e32 v18, vcc, s24, v30
	v_addc_co_u32_e32 v19, vcc, v31, v2, vcc
	global_store_dwordx2 v[18:19], v[22:23], off
	buffer_wbl2
	s_waitcnt vmcnt(0)
	global_atomic_cmpswap_x2 v[10:11], v43, v[20:23], s[2:3] offset:32 glc
	s_waitcnt vmcnt(0)
	v_cmp_ne_u64_e32 vcc, v[10:11], v[22:23]
	s_and_saveexec_b64 s[24:25], vcc
	s_cbranch_execz .LBB4_933
; %bb.931:                              ;   in Loop: Header=BB4_866 Depth=2
	s_mov_b64 s[26:27], 0
.LBB4_932:                              ;   Parent Loop BB4_3 Depth=1
                                        ;     Parent Loop BB4_866 Depth=2
                                        ; =>    This Inner Loop Header: Depth=3
	s_sleep 1
	global_store_dwordx2 v[18:19], v[10:11], off
	v_mov_b32_e32 v8, s20
	v_mov_b32_e32 v9, s21
	buffer_wbl2
	s_waitcnt vmcnt(0)
	global_atomic_cmpswap_x2 v[8:9], v43, v[8:11], s[2:3] offset:32 glc
	s_waitcnt vmcnt(0)
	v_cmp_eq_u64_e32 vcc, v[8:9], v[10:11]
	s_or_b64 s[26:27], vcc, s[26:27]
	v_pk_mov_b32 v[10:11], v[8:9], v[8:9] op_sel:[0,1]
	s_andn2_b64 exec, exec, s[26:27]
	s_cbranch_execnz .LBB4_932
.LBB4_933:                              ;   in Loop: Header=BB4_866 Depth=2
	s_or_b64 exec, exec, s[24:25]
	global_load_dwordx2 v[8:9], v43, s[2:3] offset:16
	s_mov_b64 s[26:27], exec
	v_mbcnt_lo_u32_b32 v2, s26, 0
	v_mbcnt_hi_u32_b32 v2, s27, v2
	v_cmp_eq_u32_e32 vcc, 0, v2
	s_and_saveexec_b64 s[24:25], vcc
	s_cbranch_execz .LBB4_935
; %bb.934:                              ;   in Loop: Header=BB4_866 Depth=2
	s_bcnt1_i32_b64 s26, s[26:27]
	v_mov_b32_e32 v2, s26
	buffer_wbl2
	s_waitcnt vmcnt(0)
	global_atomic_add_x2 v[8:9], v[2:3], off offset:8
.LBB4_935:                              ;   in Loop: Header=BB4_866 Depth=2
	s_or_b64 exec, exec, s[24:25]
	s_waitcnt vmcnt(0)
	global_load_dwordx2 v[10:11], v[8:9], off offset:16
	s_waitcnt vmcnt(0)
	v_cmp_eq_u64_e32 vcc, 0, v[10:11]
	s_cbranch_vccnz .LBB4_937
; %bb.936:                              ;   in Loop: Header=BB4_866 Depth=2
	global_load_dword v42, v[8:9], off offset:24
	s_waitcnt vmcnt(0)
	v_and_b32_e32 v2, 0xffffff, v42
	v_readfirstlane_b32 m0, v2
	buffer_wbl2
	global_store_dwordx2 v[10:11], v[42:43], off
	s_sendmsg sendmsg(MSG_INTERRUPT)
.LBB4_937:                              ;   in Loop: Header=BB4_866 Depth=2
	s_or_b64 exec, exec, s[22:23]
	v_add_co_u32_e32 v4, vcc, v4, v45
	v_addc_co_u32_e32 v5, vcc, 0, v1, vcc
	s_branch .LBB4_941
.LBB4_938:                              ;   in Loop: Header=BB4_941 Depth=3
	s_or_b64 exec, exec, s[22:23]
	v_readfirstlane_b32 s22, v1
	s_cmp_eq_u32 s22, 0
	s_cbranch_scc1 .LBB4_940
; %bb.939:                              ;   in Loop: Header=BB4_941 Depth=3
	s_sleep 1
	s_cbranch_execnz .LBB4_941
	s_branch .LBB4_943
.LBB4_940:                              ;   in Loop: Header=BB4_866 Depth=2
	s_branch .LBB4_943
.LBB4_941:                              ;   Parent Loop BB4_3 Depth=1
                                        ;     Parent Loop BB4_866 Depth=2
                                        ; =>    This Inner Loop Header: Depth=3
	v_mov_b32_e32 v1, 1
	s_and_saveexec_b64 s[22:23], s[0:1]
	s_cbranch_execz .LBB4_938
; %bb.942:                              ;   in Loop: Header=BB4_941 Depth=3
	global_load_dword v1, v[12:13], off offset:20 glc
	s_waitcnt vmcnt(0)
	buffer_invl2
	buffer_wbinvl1_vol
	v_and_b32_e32 v1, 1, v1
	s_branch .LBB4_938
.LBB4_943:                              ;   in Loop: Header=BB4_866 Depth=2
	global_load_dwordx4 v[8:11], v[4:5], off
	s_and_saveexec_b64 s[22:23], s[0:1]
	s_cbranch_execz .LBB4_865
; %bb.944:                              ;   in Loop: Header=BB4_866 Depth=2
	global_load_dwordx2 v[4:5], v43, s[2:3] offset:40
	global_load_dwordx2 v[18:19], v43, s[2:3] offset:24 glc
	global_load_dwordx2 v[20:21], v43, s[2:3]
	v_mov_b32_e32 v1, s21
	s_waitcnt vmcnt(2)
	v_add_co_u32_e32 v2, vcc, 1, v4
	v_addc_co_u32_e32 v13, vcc, 0, v5, vcc
	v_add_co_u32_e32 v10, vcc, s20, v2
	v_addc_co_u32_e32 v11, vcc, v13, v1, vcc
	v_cmp_eq_u64_e32 vcc, 0, v[10:11]
	v_cndmask_b32_e32 v11, v11, v13, vcc
	v_cndmask_b32_e32 v10, v10, v2, vcc
	v_and_b32_e32 v1, v11, v5
	v_and_b32_e32 v2, v10, v4
	v_mul_lo_u32 v1, v1, 24
	v_mul_hi_u32 v4, v2, 24
	v_mul_lo_u32 v2, v2, 24
	v_add_u32_e32 v1, v4, v1
	s_waitcnt vmcnt(0)
	v_add_co_u32_e32 v4, vcc, v20, v2
	v_addc_co_u32_e32 v5, vcc, v21, v1, vcc
	v_mov_b32_e32 v12, v18
	global_store_dwordx2 v[4:5], v[18:19], off
	v_mov_b32_e32 v13, v19
	buffer_wbl2
	s_waitcnt vmcnt(0)
	global_atomic_cmpswap_x2 v[12:13], v43, v[10:13], s[2:3] offset:24 glc
	s_waitcnt vmcnt(0)
	v_cmp_ne_u64_e32 vcc, v[12:13], v[18:19]
	s_and_b64 exec, exec, vcc
	s_cbranch_execz .LBB4_865
; %bb.945:                              ;   in Loop: Header=BB4_866 Depth=2
	s_mov_b64 s[0:1], 0
.LBB4_946:                              ;   Parent Loop BB4_3 Depth=1
                                        ;     Parent Loop BB4_866 Depth=2
                                        ; =>    This Inner Loop Header: Depth=3
	s_sleep 1
	global_store_dwordx2 v[4:5], v[12:13], off
	buffer_wbl2
	s_waitcnt vmcnt(0)
	global_atomic_cmpswap_x2 v[18:19], v43, v[10:13], s[2:3] offset:24 glc
	s_waitcnt vmcnt(0)
	v_cmp_eq_u64_e32 vcc, v[18:19], v[12:13]
	s_or_b64 s[0:1], vcc, s[0:1]
	v_pk_mov_b32 v[12:13], v[18:19], v[18:19] op_sel:[0,1]
	s_andn2_b64 exec, exec, s[0:1]
	s_cbranch_execnz .LBB4_946
	s_branch .LBB4_865
.LBB4_947:                              ;   in Loop: Header=BB4_3 Depth=1
.LBB4_948:                              ;   in Loop: Header=BB4_3 Depth=1
	s_and_b64 vcc, exec, s[12:13]
	s_cbranch_vccz .LBB4_1061
.LBB4_949:                              ;   in Loop: Header=BB4_3 Depth=1
	s_waitcnt vmcnt(0)
	v_and_b32_e32 v32, 2, v8
	v_and_b32_e32 v10, -3, v8
	v_mov_b32_e32 v11, v9
	s_mov_b64 s[16:17], 45
	s_getpc_b64 s[14:15]
	s_add_u32 s14, s14, .str.6@rel32@lo+4
	s_addc_u32 s15, s15, .str.6@rel32@hi+12
	s_branch .LBB4_951
.LBB4_950:                              ;   in Loop: Header=BB4_951 Depth=2
	s_or_b64 exec, exec, s[22:23]
	s_sub_u32 s16, s16, s18
	s_subb_u32 s17, s17, s19
	s_add_u32 s14, s14, s18
	s_addc_u32 s15, s15, s19
	s_cmp_lg_u64 s[16:17], 0
	s_cbranch_scc0 .LBB4_1032
.LBB4_951:                              ;   Parent Loop BB4_3 Depth=1
                                        ; =>  This Loop Header: Depth=2
                                        ;       Child Loop BB4_954 Depth 3
                                        ;       Child Loop BB4_961 Depth 3
	;; [unrolled: 1-line block ×11, first 2 shown]
	v_cmp_lt_u64_e64 s[0:1], s[16:17], 56
	s_and_b64 s[0:1], s[0:1], exec
	v_cmp_gt_u64_e64 s[0:1], s[16:17], 7
	s_cselect_b32 s19, s17, 0
	s_cselect_b32 s18, s16, 56
	s_and_b64 vcc, exec, s[0:1]
	s_cbranch_vccnz .LBB4_956
; %bb.952:                              ;   in Loop: Header=BB4_951 Depth=2
	s_mov_b64 s[0:1], 0
	s_cmp_eq_u64 s[16:17], 0
	s_waitcnt vmcnt(0)
	v_pk_mov_b32 v[12:13], 0, 0
	s_cbranch_scc1 .LBB4_955
; %bb.953:                              ;   in Loop: Header=BB4_951 Depth=2
	s_lshl_b64 s[20:21], s[18:19], 3
	s_mov_b64 s[22:23], 0
	v_pk_mov_b32 v[12:13], 0, 0
	s_mov_b64 s[24:25], s[14:15]
.LBB4_954:                              ;   Parent Loop BB4_3 Depth=1
                                        ;     Parent Loop BB4_951 Depth=2
                                        ; =>    This Inner Loop Header: Depth=3
	global_load_ubyte v1, v43, s[24:25]
	s_waitcnt vmcnt(0)
	v_and_b32_e32 v42, 0xffff, v1
	v_lshlrev_b64 v[4:5], s22, v[42:43]
	s_add_u32 s22, s22, 8
	s_addc_u32 s23, s23, 0
	s_add_u32 s24, s24, 1
	s_addc_u32 s25, s25, 0
	v_or_b32_e32 v12, v4, v12
	s_cmp_lg_u32 s20, s22
	v_or_b32_e32 v13, v5, v13
	s_cbranch_scc1 .LBB4_954
.LBB4_955:                              ;   in Loop: Header=BB4_951 Depth=2
	s_mov_b32 s24, 0
	s_andn2_b64 vcc, exec, s[0:1]
	s_mov_b64 s[0:1], s[14:15]
	s_cbranch_vccz .LBB4_957
	s_branch .LBB4_958
.LBB4_956:                              ;   in Loop: Header=BB4_951 Depth=2
                                        ; implicit-def: $vgpr12_vgpr13
                                        ; implicit-def: $sgpr24
	s_mov_b64 s[0:1], s[14:15]
.LBB4_957:                              ;   in Loop: Header=BB4_951 Depth=2
	global_load_dwordx2 v[12:13], v43, s[14:15]
	s_add_i32 s24, s18, -8
	s_add_u32 s0, s14, 8
	s_addc_u32 s1, s15, 0
.LBB4_958:                              ;   in Loop: Header=BB4_951 Depth=2
	s_cmp_gt_u32 s24, 7
	s_cbranch_scc1 .LBB4_962
; %bb.959:                              ;   in Loop: Header=BB4_951 Depth=2
	s_cmp_eq_u32 s24, 0
	s_cbranch_scc1 .LBB4_963
; %bb.960:                              ;   in Loop: Header=BB4_951 Depth=2
	s_mov_b64 s[20:21], 0
	v_pk_mov_b32 v[16:17], 0, 0
	s_mov_b64 s[22:23], 0
.LBB4_961:                              ;   Parent Loop BB4_3 Depth=1
                                        ;     Parent Loop BB4_951 Depth=2
                                        ; =>    This Inner Loop Header: Depth=3
	s_add_u32 s26, s0, s22
	s_addc_u32 s27, s1, s23
	global_load_ubyte v1, v43, s[26:27]
	s_add_u32 s22, s22, 1
	s_addc_u32 s23, s23, 0
	s_waitcnt vmcnt(0)
	v_and_b32_e32 v42, 0xffff, v1
	v_lshlrev_b64 v[4:5], s20, v[42:43]
	s_add_u32 s20, s20, 8
	s_addc_u32 s21, s21, 0
	v_or_b32_e32 v16, v4, v16
	s_cmp_lg_u32 s24, s22
	v_or_b32_e32 v17, v5, v17
	s_cbranch_scc1 .LBB4_961
	s_branch .LBB4_964
.LBB4_962:                              ;   in Loop: Header=BB4_951 Depth=2
                                        ; implicit-def: $vgpr16_vgpr17
                                        ; implicit-def: $sgpr25
	s_branch .LBB4_965
.LBB4_963:                              ;   in Loop: Header=BB4_951 Depth=2
	v_pk_mov_b32 v[16:17], 0, 0
.LBB4_964:                              ;   in Loop: Header=BB4_951 Depth=2
	s_mov_b32 s25, 0
	s_cbranch_execnz .LBB4_966
.LBB4_965:                              ;   in Loop: Header=BB4_951 Depth=2
	global_load_dwordx2 v[16:17], v43, s[0:1]
	s_add_i32 s25, s24, -8
	s_add_u32 s0, s0, 8
	s_addc_u32 s1, s1, 0
.LBB4_966:                              ;   in Loop: Header=BB4_951 Depth=2
	s_cmp_gt_u32 s25, 7
	s_cbranch_scc1 .LBB4_970
; %bb.967:                              ;   in Loop: Header=BB4_951 Depth=2
	s_cmp_eq_u32 s25, 0
	s_cbranch_scc1 .LBB4_971
; %bb.968:                              ;   in Loop: Header=BB4_951 Depth=2
	s_mov_b64 s[20:21], 0
	v_pk_mov_b32 v[18:19], 0, 0
	s_mov_b64 s[22:23], 0
.LBB4_969:                              ;   Parent Loop BB4_3 Depth=1
                                        ;     Parent Loop BB4_951 Depth=2
                                        ; =>    This Inner Loop Header: Depth=3
	s_add_u32 s26, s0, s22
	s_addc_u32 s27, s1, s23
	global_load_ubyte v1, v43, s[26:27]
	s_add_u32 s22, s22, 1
	s_addc_u32 s23, s23, 0
	s_waitcnt vmcnt(0)
	v_and_b32_e32 v42, 0xffff, v1
	v_lshlrev_b64 v[4:5], s20, v[42:43]
	s_add_u32 s20, s20, 8
	s_addc_u32 s21, s21, 0
	v_or_b32_e32 v18, v4, v18
	s_cmp_lg_u32 s25, s22
	v_or_b32_e32 v19, v5, v19
	s_cbranch_scc1 .LBB4_969
	s_branch .LBB4_972
.LBB4_970:                              ;   in Loop: Header=BB4_951 Depth=2
                                        ; implicit-def: $sgpr24
	s_branch .LBB4_973
.LBB4_971:                              ;   in Loop: Header=BB4_951 Depth=2
	v_pk_mov_b32 v[18:19], 0, 0
.LBB4_972:                              ;   in Loop: Header=BB4_951 Depth=2
	s_mov_b32 s24, 0
	s_cbranch_execnz .LBB4_974
.LBB4_973:                              ;   in Loop: Header=BB4_951 Depth=2
	global_load_dwordx2 v[18:19], v43, s[0:1]
	s_add_i32 s24, s25, -8
	s_add_u32 s0, s0, 8
	s_addc_u32 s1, s1, 0
.LBB4_974:                              ;   in Loop: Header=BB4_951 Depth=2
	s_cmp_gt_u32 s24, 7
	s_cbranch_scc1 .LBB4_978
; %bb.975:                              ;   in Loop: Header=BB4_951 Depth=2
	s_cmp_eq_u32 s24, 0
	s_cbranch_scc1 .LBB4_979
; %bb.976:                              ;   in Loop: Header=BB4_951 Depth=2
	s_mov_b64 s[20:21], 0
	v_pk_mov_b32 v[20:21], 0, 0
	s_mov_b64 s[22:23], 0
.LBB4_977:                              ;   Parent Loop BB4_3 Depth=1
                                        ;     Parent Loop BB4_951 Depth=2
                                        ; =>    This Inner Loop Header: Depth=3
	s_add_u32 s26, s0, s22
	s_addc_u32 s27, s1, s23
	global_load_ubyte v1, v43, s[26:27]
	s_add_u32 s22, s22, 1
	s_addc_u32 s23, s23, 0
	s_waitcnt vmcnt(0)
	v_and_b32_e32 v42, 0xffff, v1
	v_lshlrev_b64 v[4:5], s20, v[42:43]
	s_add_u32 s20, s20, 8
	s_addc_u32 s21, s21, 0
	v_or_b32_e32 v20, v4, v20
	s_cmp_lg_u32 s24, s22
	v_or_b32_e32 v21, v5, v21
	s_cbranch_scc1 .LBB4_977
	s_branch .LBB4_980
.LBB4_978:                              ;   in Loop: Header=BB4_951 Depth=2
                                        ; implicit-def: $vgpr20_vgpr21
                                        ; implicit-def: $sgpr25
	s_branch .LBB4_981
.LBB4_979:                              ;   in Loop: Header=BB4_951 Depth=2
	v_pk_mov_b32 v[20:21], 0, 0
.LBB4_980:                              ;   in Loop: Header=BB4_951 Depth=2
	s_mov_b32 s25, 0
	s_cbranch_execnz .LBB4_982
.LBB4_981:                              ;   in Loop: Header=BB4_951 Depth=2
	global_load_dwordx2 v[20:21], v43, s[0:1]
	s_add_i32 s25, s24, -8
	s_add_u32 s0, s0, 8
	s_addc_u32 s1, s1, 0
.LBB4_982:                              ;   in Loop: Header=BB4_951 Depth=2
	s_cmp_gt_u32 s25, 7
	s_cbranch_scc1 .LBB4_986
; %bb.983:                              ;   in Loop: Header=BB4_951 Depth=2
	s_cmp_eq_u32 s25, 0
	s_cbranch_scc1 .LBB4_987
; %bb.984:                              ;   in Loop: Header=BB4_951 Depth=2
	s_mov_b64 s[20:21], 0
	v_pk_mov_b32 v[22:23], 0, 0
	s_mov_b64 s[22:23], 0
.LBB4_985:                              ;   Parent Loop BB4_3 Depth=1
                                        ;     Parent Loop BB4_951 Depth=2
                                        ; =>    This Inner Loop Header: Depth=3
	s_add_u32 s26, s0, s22
	s_addc_u32 s27, s1, s23
	global_load_ubyte v1, v43, s[26:27]
	s_add_u32 s22, s22, 1
	s_addc_u32 s23, s23, 0
	s_waitcnt vmcnt(0)
	v_and_b32_e32 v42, 0xffff, v1
	v_lshlrev_b64 v[4:5], s20, v[42:43]
	s_add_u32 s20, s20, 8
	s_addc_u32 s21, s21, 0
	v_or_b32_e32 v22, v4, v22
	s_cmp_lg_u32 s25, s22
	v_or_b32_e32 v23, v5, v23
	s_cbranch_scc1 .LBB4_985
	s_branch .LBB4_988
.LBB4_986:                              ;   in Loop: Header=BB4_951 Depth=2
                                        ; implicit-def: $sgpr24
	s_branch .LBB4_989
.LBB4_987:                              ;   in Loop: Header=BB4_951 Depth=2
	v_pk_mov_b32 v[22:23], 0, 0
.LBB4_988:                              ;   in Loop: Header=BB4_951 Depth=2
	s_mov_b32 s24, 0
	s_cbranch_execnz .LBB4_990
.LBB4_989:                              ;   in Loop: Header=BB4_951 Depth=2
	global_load_dwordx2 v[22:23], v43, s[0:1]
	s_add_i32 s24, s25, -8
	s_add_u32 s0, s0, 8
	s_addc_u32 s1, s1, 0
.LBB4_990:                              ;   in Loop: Header=BB4_951 Depth=2
	s_cmp_gt_u32 s24, 7
	s_cbranch_scc1 .LBB4_994
; %bb.991:                              ;   in Loop: Header=BB4_951 Depth=2
	s_cmp_eq_u32 s24, 0
	s_cbranch_scc1 .LBB4_995
; %bb.992:                              ;   in Loop: Header=BB4_951 Depth=2
	s_mov_b64 s[20:21], 0
	v_pk_mov_b32 v[24:25], 0, 0
	s_mov_b64 s[22:23], 0
.LBB4_993:                              ;   Parent Loop BB4_3 Depth=1
                                        ;     Parent Loop BB4_951 Depth=2
                                        ; =>    This Inner Loop Header: Depth=3
	s_add_u32 s26, s0, s22
	s_addc_u32 s27, s1, s23
	global_load_ubyte v1, v43, s[26:27]
	s_add_u32 s22, s22, 1
	s_addc_u32 s23, s23, 0
	s_waitcnt vmcnt(0)
	v_and_b32_e32 v42, 0xffff, v1
	v_lshlrev_b64 v[4:5], s20, v[42:43]
	s_add_u32 s20, s20, 8
	s_addc_u32 s21, s21, 0
	v_or_b32_e32 v24, v4, v24
	s_cmp_lg_u32 s24, s22
	v_or_b32_e32 v25, v5, v25
	s_cbranch_scc1 .LBB4_993
	s_branch .LBB4_996
.LBB4_994:                              ;   in Loop: Header=BB4_951 Depth=2
                                        ; implicit-def: $vgpr24_vgpr25
                                        ; implicit-def: $sgpr25
	s_branch .LBB4_997
.LBB4_995:                              ;   in Loop: Header=BB4_951 Depth=2
	v_pk_mov_b32 v[24:25], 0, 0
.LBB4_996:                              ;   in Loop: Header=BB4_951 Depth=2
	s_mov_b32 s25, 0
	s_cbranch_execnz .LBB4_998
.LBB4_997:                              ;   in Loop: Header=BB4_951 Depth=2
	global_load_dwordx2 v[24:25], v43, s[0:1]
	s_add_i32 s25, s24, -8
	s_add_u32 s0, s0, 8
	s_addc_u32 s1, s1, 0
.LBB4_998:                              ;   in Loop: Header=BB4_951 Depth=2
	s_cmp_gt_u32 s25, 7
	s_cbranch_scc1 .LBB4_1002
; %bb.999:                              ;   in Loop: Header=BB4_951 Depth=2
	s_cmp_eq_u32 s25, 0
	s_cbranch_scc1 .LBB4_1003
; %bb.1000:                             ;   in Loop: Header=BB4_951 Depth=2
	s_mov_b64 s[20:21], 0
	v_pk_mov_b32 v[26:27], 0, 0
	s_mov_b64 s[22:23], s[0:1]
.LBB4_1001:                             ;   Parent Loop BB4_3 Depth=1
                                        ;     Parent Loop BB4_951 Depth=2
                                        ; =>    This Inner Loop Header: Depth=3
	global_load_ubyte v1, v43, s[22:23]
	s_add_i32 s25, s25, -1
	s_waitcnt vmcnt(0)
	v_and_b32_e32 v42, 0xffff, v1
	v_lshlrev_b64 v[4:5], s20, v[42:43]
	s_add_u32 s20, s20, 8
	s_addc_u32 s21, s21, 0
	s_add_u32 s22, s22, 1
	s_addc_u32 s23, s23, 0
	v_or_b32_e32 v26, v4, v26
	s_cmp_lg_u32 s25, 0
	v_or_b32_e32 v27, v5, v27
	s_cbranch_scc1 .LBB4_1001
	s_branch .LBB4_1004
.LBB4_1002:                             ;   in Loop: Header=BB4_951 Depth=2
	s_branch .LBB4_1005
.LBB4_1003:                             ;   in Loop: Header=BB4_951 Depth=2
	v_pk_mov_b32 v[26:27], 0, 0
.LBB4_1004:                             ;   in Loop: Header=BB4_951 Depth=2
	s_cbranch_execnz .LBB4_1006
.LBB4_1005:                             ;   in Loop: Header=BB4_951 Depth=2
	global_load_dwordx2 v[26:27], v43, s[0:1]
.LBB4_1006:                             ;   in Loop: Header=BB4_951 Depth=2
	v_readfirstlane_b32 s0, v40
	v_cmp_eq_u32_e64 s[0:1], s0, v40
	v_pk_mov_b32 v[4:5], 0, 0
	s_and_saveexec_b64 s[20:21], s[0:1]
	s_cbranch_execz .LBB4_1012
; %bb.1007:                             ;   in Loop: Header=BB4_951 Depth=2
	global_load_dwordx2 v[30:31], v43, s[2:3] offset:24 glc
	s_waitcnt vmcnt(0)
	buffer_invl2
	buffer_wbinvl1_vol
	global_load_dwordx2 v[4:5], v43, s[2:3] offset:40
	global_load_dwordx2 v[28:29], v43, s[2:3]
	s_waitcnt vmcnt(1)
	v_and_b32_e32 v1, v4, v30
	v_and_b32_e32 v2, v5, v31
	v_mul_lo_u32 v2, v2, 24
	v_mul_hi_u32 v4, v1, 24
	v_mul_lo_u32 v1, v1, 24
	v_add_u32_e32 v2, v4, v2
	s_waitcnt vmcnt(0)
	v_add_co_u32_e32 v4, vcc, v28, v1
	v_addc_co_u32_e32 v5, vcc, v29, v2, vcc
	global_load_dwordx2 v[28:29], v[4:5], off glc
	s_waitcnt vmcnt(0)
	global_atomic_cmpswap_x2 v[4:5], v43, v[28:31], s[2:3] offset:24 glc
	s_waitcnt vmcnt(0)
	buffer_invl2
	buffer_wbinvl1_vol
	v_cmp_ne_u64_e32 vcc, v[4:5], v[30:31]
	s_and_saveexec_b64 s[22:23], vcc
	s_cbranch_execz .LBB4_1011
; %bb.1008:                             ;   in Loop: Header=BB4_951 Depth=2
	s_mov_b64 s[24:25], 0
.LBB4_1009:                             ;   Parent Loop BB4_3 Depth=1
                                        ;     Parent Loop BB4_951 Depth=2
                                        ; =>    This Inner Loop Header: Depth=3
	s_sleep 1
	global_load_dwordx2 v[28:29], v43, s[2:3] offset:40
	global_load_dwordx2 v[36:37], v43, s[2:3]
	v_pk_mov_b32 v[30:31], v[4:5], v[4:5] op_sel:[0,1]
	s_waitcnt vmcnt(1)
	v_and_b32_e32 v2, v28, v30
	s_waitcnt vmcnt(0)
	v_mad_u64_u32 v[4:5], s[26:27], v2, 24, v[36:37]
	v_and_b32_e32 v1, v29, v31
	v_mov_b32_e32 v2, v5
	v_mad_u64_u32 v[28:29], s[26:27], v1, 24, v[2:3]
	v_mov_b32_e32 v5, v28
	global_load_dwordx2 v[28:29], v[4:5], off glc
	s_waitcnt vmcnt(0)
	global_atomic_cmpswap_x2 v[4:5], v43, v[28:31], s[2:3] offset:24 glc
	s_waitcnt vmcnt(0)
	buffer_invl2
	buffer_wbinvl1_vol
	v_cmp_eq_u64_e32 vcc, v[4:5], v[30:31]
	s_or_b64 s[24:25], vcc, s[24:25]
	s_andn2_b64 exec, exec, s[24:25]
	s_cbranch_execnz .LBB4_1009
; %bb.1010:                             ;   in Loop: Header=BB4_951 Depth=2
	s_or_b64 exec, exec, s[24:25]
.LBB4_1011:                             ;   in Loop: Header=BB4_951 Depth=2
	s_or_b64 exec, exec, s[22:23]
.LBB4_1012:                             ;   in Loop: Header=BB4_951 Depth=2
	s_or_b64 exec, exec, s[20:21]
	global_load_dwordx2 v[36:37], v43, s[2:3] offset:40
	global_load_dwordx4 v[28:31], v43, s[2:3]
	v_readfirstlane_b32 s20, v4
	v_readfirstlane_b32 s21, v5
	s_mov_b64 s[22:23], exec
	s_waitcnt vmcnt(1)
	v_readfirstlane_b32 s24, v36
	v_readfirstlane_b32 s25, v37
	s_and_b64 s[24:25], s[20:21], s[24:25]
	s_mul_i32 s26, s25, 24
	s_mul_hi_u32 s27, s24, 24
	s_mul_i32 s33, s24, 24
	s_add_i32 s26, s27, s26
	v_mov_b32_e32 v1, s26
	s_waitcnt vmcnt(0)
	v_add_co_u32_e32 v36, vcc, s33, v28
	v_addc_co_u32_e32 v37, vcc, v29, v1, vcc
	s_and_saveexec_b64 s[26:27], s[0:1]
	s_cbranch_execz .LBB4_1014
; %bb.1013:                             ;   in Loop: Header=BB4_951 Depth=2
	v_pk_mov_b32 v[4:5], s[22:23], s[22:23] op_sel:[0,1]
	global_store_dwordx4 v[36:37], v[4:7], off offset:8
.LBB4_1014:                             ;   in Loop: Header=BB4_951 Depth=2
	s_or_b64 exec, exec, s[26:27]
	s_lshl_b64 s[22:23], s[24:25], 12
	v_mov_b32_e32 v1, s23
	v_add_co_u32_e32 v4, vcc, s22, v30
	v_addc_co_u32_e32 v1, vcc, v31, v1, vcc
	v_or_b32_e32 v2, 0, v11
	v_or_b32_e32 v5, v10, v32
	v_cmp_gt_u64_e64 vcc, s[16:17], 56
	s_lshl_b32 s22, s18, 2
	v_cndmask_b32_e32 v11, v2, v11, vcc
	v_cndmask_b32_e32 v2, v5, v10, vcc
	s_add_i32 s22, s22, 28
	s_and_b32 s22, s22, 0x1e0
	v_and_b32_e32 v2, 0xffffff1f, v2
	v_or_b32_e32 v10, s22, v2
	v_readfirstlane_b32 s22, v4
	v_readfirstlane_b32 s23, v1
	s_nop 4
	global_store_dwordx4 v45, v[10:13], s[22:23]
	global_store_dwordx4 v45, v[16:19], s[22:23] offset:16
	global_store_dwordx4 v45, v[20:23], s[22:23] offset:32
	global_store_dwordx4 v45, v[24:27], s[22:23] offset:48
	s_and_saveexec_b64 s[22:23], s[0:1]
	s_cbranch_execz .LBB4_1022
; %bb.1015:                             ;   in Loop: Header=BB4_951 Depth=2
	global_load_dwordx2 v[20:21], v43, s[2:3] offset:32 glc
	global_load_dwordx2 v[10:11], v43, s[2:3] offset:40
	v_mov_b32_e32 v18, s20
	v_mov_b32_e32 v19, s21
	s_waitcnt vmcnt(0)
	v_readfirstlane_b32 s24, v10
	v_readfirstlane_b32 s25, v11
	s_and_b64 s[24:25], s[24:25], s[20:21]
	s_mul_i32 s25, s25, 24
	s_mul_hi_u32 s26, s24, 24
	s_mul_i32 s24, s24, 24
	s_add_i32 s25, s26, s25
	v_mov_b32_e32 v2, s25
	v_add_co_u32_e32 v16, vcc, s24, v28
	v_addc_co_u32_e32 v17, vcc, v29, v2, vcc
	global_store_dwordx2 v[16:17], v[20:21], off
	buffer_wbl2
	s_waitcnt vmcnt(0)
	global_atomic_cmpswap_x2 v[12:13], v43, v[18:21], s[2:3] offset:32 glc
	s_waitcnt vmcnt(0)
	v_cmp_ne_u64_e32 vcc, v[12:13], v[20:21]
	s_and_saveexec_b64 s[24:25], vcc
	s_cbranch_execz .LBB4_1018
; %bb.1016:                             ;   in Loop: Header=BB4_951 Depth=2
	s_mov_b64 s[26:27], 0
.LBB4_1017:                             ;   Parent Loop BB4_3 Depth=1
                                        ;     Parent Loop BB4_951 Depth=2
                                        ; =>    This Inner Loop Header: Depth=3
	s_sleep 1
	global_store_dwordx2 v[16:17], v[12:13], off
	v_mov_b32_e32 v10, s20
	v_mov_b32_e32 v11, s21
	buffer_wbl2
	s_waitcnt vmcnt(0)
	global_atomic_cmpswap_x2 v[10:11], v43, v[10:13], s[2:3] offset:32 glc
	s_waitcnt vmcnt(0)
	v_cmp_eq_u64_e32 vcc, v[10:11], v[12:13]
	s_or_b64 s[26:27], vcc, s[26:27]
	v_pk_mov_b32 v[12:13], v[10:11], v[10:11] op_sel:[0,1]
	s_andn2_b64 exec, exec, s[26:27]
	s_cbranch_execnz .LBB4_1017
.LBB4_1018:                             ;   in Loop: Header=BB4_951 Depth=2
	s_or_b64 exec, exec, s[24:25]
	global_load_dwordx2 v[10:11], v43, s[2:3] offset:16
	s_mov_b64 s[26:27], exec
	v_mbcnt_lo_u32_b32 v2, s26, 0
	v_mbcnt_hi_u32_b32 v2, s27, v2
	v_cmp_eq_u32_e32 vcc, 0, v2
	s_and_saveexec_b64 s[24:25], vcc
	s_cbranch_execz .LBB4_1020
; %bb.1019:                             ;   in Loop: Header=BB4_951 Depth=2
	s_bcnt1_i32_b64 s26, s[26:27]
	v_mov_b32_e32 v2, s26
	buffer_wbl2
	s_waitcnt vmcnt(0)
	global_atomic_add_x2 v[10:11], v[2:3], off offset:8
.LBB4_1020:                             ;   in Loop: Header=BB4_951 Depth=2
	s_or_b64 exec, exec, s[24:25]
	s_waitcnt vmcnt(0)
	global_load_dwordx2 v[12:13], v[10:11], off offset:16
	s_waitcnt vmcnt(0)
	v_cmp_eq_u64_e32 vcc, 0, v[12:13]
	s_cbranch_vccnz .LBB4_1022
; %bb.1021:                             ;   in Loop: Header=BB4_951 Depth=2
	global_load_dword v42, v[10:11], off offset:24
	s_waitcnt vmcnt(0)
	v_and_b32_e32 v2, 0xffffff, v42
	v_readfirstlane_b32 m0, v2
	buffer_wbl2
	global_store_dwordx2 v[12:13], v[42:43], off
	s_sendmsg sendmsg(MSG_INTERRUPT)
.LBB4_1022:                             ;   in Loop: Header=BB4_951 Depth=2
	s_or_b64 exec, exec, s[22:23]
	v_add_co_u32_e32 v4, vcc, v4, v45
	v_addc_co_u32_e32 v5, vcc, 0, v1, vcc
	s_branch .LBB4_1026
.LBB4_1023:                             ;   in Loop: Header=BB4_1026 Depth=3
	s_or_b64 exec, exec, s[22:23]
	v_readfirstlane_b32 s22, v1
	s_cmp_eq_u32 s22, 0
	s_cbranch_scc1 .LBB4_1025
; %bb.1024:                             ;   in Loop: Header=BB4_1026 Depth=3
	s_sleep 1
	s_cbranch_execnz .LBB4_1026
	s_branch .LBB4_1028
.LBB4_1025:                             ;   in Loop: Header=BB4_951 Depth=2
	s_branch .LBB4_1028
.LBB4_1026:                             ;   Parent Loop BB4_3 Depth=1
                                        ;     Parent Loop BB4_951 Depth=2
                                        ; =>    This Inner Loop Header: Depth=3
	v_mov_b32_e32 v1, 1
	s_and_saveexec_b64 s[22:23], s[0:1]
	s_cbranch_execz .LBB4_1023
; %bb.1027:                             ;   in Loop: Header=BB4_1026 Depth=3
	global_load_dword v1, v[36:37], off offset:20 glc
	s_waitcnt vmcnt(0)
	buffer_invl2
	buffer_wbinvl1_vol
	v_and_b32_e32 v1, 1, v1
	s_branch .LBB4_1023
.LBB4_1028:                             ;   in Loop: Header=BB4_951 Depth=2
	global_load_dwordx4 v[10:13], v[4:5], off
	s_and_saveexec_b64 s[22:23], s[0:1]
	s_cbranch_execz .LBB4_950
; %bb.1029:                             ;   in Loop: Header=BB4_951 Depth=2
	global_load_dwordx2 v[4:5], v43, s[2:3] offset:40
	global_load_dwordx2 v[12:13], v43, s[2:3] offset:24 glc
	global_load_dwordx2 v[20:21], v43, s[2:3]
	v_mov_b32_e32 v1, s21
	s_waitcnt vmcnt(2)
	v_add_co_u32_e32 v2, vcc, 1, v4
	v_addc_co_u32_e32 v15, vcc, 0, v5, vcc
	v_add_co_u32_e32 v16, vcc, s20, v2
	v_addc_co_u32_e32 v17, vcc, v15, v1, vcc
	v_cmp_eq_u64_e32 vcc, 0, v[16:17]
	v_cndmask_b32_e32 v17, v17, v15, vcc
	v_cndmask_b32_e32 v16, v16, v2, vcc
	v_and_b32_e32 v1, v17, v5
	v_and_b32_e32 v2, v16, v4
	v_mul_lo_u32 v1, v1, 24
	v_mul_hi_u32 v4, v2, 24
	v_mul_lo_u32 v2, v2, 24
	v_add_u32_e32 v1, v4, v1
	s_waitcnt vmcnt(0)
	v_add_co_u32_e32 v4, vcc, v20, v2
	v_addc_co_u32_e32 v5, vcc, v21, v1, vcc
	v_mov_b32_e32 v18, v12
	global_store_dwordx2 v[4:5], v[12:13], off
	v_mov_b32_e32 v19, v13
	buffer_wbl2
	s_waitcnt vmcnt(0)
	global_atomic_cmpswap_x2 v[18:19], v43, v[16:19], s[2:3] offset:24 glc
	s_waitcnt vmcnt(0)
	v_cmp_ne_u64_e32 vcc, v[18:19], v[12:13]
	s_and_b64 exec, exec, vcc
	s_cbranch_execz .LBB4_950
; %bb.1030:                             ;   in Loop: Header=BB4_951 Depth=2
	s_mov_b64 s[0:1], 0
.LBB4_1031:                             ;   Parent Loop BB4_3 Depth=1
                                        ;     Parent Loop BB4_951 Depth=2
                                        ; =>    This Inner Loop Header: Depth=3
	s_sleep 1
	global_store_dwordx2 v[4:5], v[18:19], off
	buffer_wbl2
	s_waitcnt vmcnt(0)
	global_atomic_cmpswap_x2 v[12:13], v43, v[16:19], s[2:3] offset:24 glc
	s_waitcnt vmcnt(0)
	v_cmp_eq_u64_e32 vcc, v[12:13], v[18:19]
	s_or_b64 s[0:1], vcc, s[0:1]
	v_pk_mov_b32 v[18:19], v[12:13], v[12:13] op_sel:[0,1]
	s_andn2_b64 exec, exec, s[0:1]
	s_cbranch_execnz .LBB4_1031
	s_branch .LBB4_950
.LBB4_1032:                             ;   in Loop: Header=BB4_3 Depth=1
	s_branch .LBB4_1089
.LBB4_1033:                             ;   in Loop: Header=BB4_3 Depth=1
                                        ; implicit-def: $vgpr8_vgpr9
	s_cbranch_execz .LBB4_948
; %bb.1034:                             ;   in Loop: Header=BB4_3 Depth=1
	v_readfirstlane_b32 s0, v40
	v_cmp_eq_u32_e64 s[0:1], s0, v40
	v_pk_mov_b32 v[4:5], 0, 0
	s_and_saveexec_b64 s[14:15], s[0:1]
	s_cbranch_execz .LBB4_1040
; %bb.1035:                             ;   in Loop: Header=BB4_3 Depth=1
	global_load_dwordx2 v[10:11], v43, s[2:3] offset:24 glc
	s_waitcnt vmcnt(0)
	buffer_invl2
	buffer_wbinvl1_vol
	global_load_dwordx2 v[4:5], v43, s[2:3] offset:40
	global_load_dwordx2 v[8:9], v43, s[2:3]
	s_waitcnt vmcnt(1)
	v_and_b32_e32 v1, v4, v10
	v_and_b32_e32 v2, v5, v11
	v_mul_lo_u32 v2, v2, 24
	v_mul_hi_u32 v4, v1, 24
	v_mul_lo_u32 v1, v1, 24
	v_add_u32_e32 v2, v4, v2
	s_waitcnt vmcnt(0)
	v_add_co_u32_e32 v4, vcc, v8, v1
	v_addc_co_u32_e32 v5, vcc, v9, v2, vcc
	global_load_dwordx2 v[8:9], v[4:5], off glc
	s_waitcnt vmcnt(0)
	global_atomic_cmpswap_x2 v[4:5], v43, v[8:11], s[2:3] offset:24 glc
	s_waitcnt vmcnt(0)
	buffer_invl2
	buffer_wbinvl1_vol
	v_cmp_ne_u64_e32 vcc, v[4:5], v[10:11]
	s_and_saveexec_b64 s[16:17], vcc
	s_cbranch_execz .LBB4_1039
; %bb.1036:                             ;   in Loop: Header=BB4_3 Depth=1
	s_mov_b64 s[18:19], 0
.LBB4_1037:                             ;   Parent Loop BB4_3 Depth=1
                                        ; =>  This Inner Loop Header: Depth=2
	s_sleep 1
	global_load_dwordx2 v[8:9], v43, s[2:3] offset:40
	global_load_dwordx2 v[12:13], v43, s[2:3]
	v_pk_mov_b32 v[10:11], v[4:5], v[4:5] op_sel:[0,1]
	s_waitcnt vmcnt(1)
	v_and_b32_e32 v2, v8, v10
	s_waitcnt vmcnt(0)
	v_mad_u64_u32 v[4:5], s[20:21], v2, 24, v[12:13]
	v_and_b32_e32 v1, v9, v11
	v_mov_b32_e32 v2, v5
	v_mad_u64_u32 v[8:9], s[20:21], v1, 24, v[2:3]
	v_mov_b32_e32 v5, v8
	global_load_dwordx2 v[8:9], v[4:5], off glc
	s_waitcnt vmcnt(0)
	global_atomic_cmpswap_x2 v[4:5], v43, v[8:11], s[2:3] offset:24 glc
	s_waitcnt vmcnt(0)
	buffer_invl2
	buffer_wbinvl1_vol
	v_cmp_eq_u64_e32 vcc, v[4:5], v[10:11]
	s_or_b64 s[18:19], vcc, s[18:19]
	s_andn2_b64 exec, exec, s[18:19]
	s_cbranch_execnz .LBB4_1037
; %bb.1038:                             ;   in Loop: Header=BB4_3 Depth=1
	s_or_b64 exec, exec, s[18:19]
.LBB4_1039:                             ;   in Loop: Header=BB4_3 Depth=1
	s_or_b64 exec, exec, s[16:17]
.LBB4_1040:                             ;   in Loop: Header=BB4_3 Depth=1
	s_or_b64 exec, exec, s[14:15]
	global_load_dwordx2 v[12:13], v43, s[2:3] offset:40
	global_load_dwordx4 v[8:11], v43, s[2:3]
	v_readfirstlane_b32 s14, v4
	v_readfirstlane_b32 s15, v5
	s_mov_b64 s[16:17], exec
	s_waitcnt vmcnt(1)
	v_readfirstlane_b32 s18, v12
	v_readfirstlane_b32 s19, v13
	s_and_b64 s[18:19], s[14:15], s[18:19]
	s_mul_i32 s20, s19, 24
	s_mul_hi_u32 s21, s18, 24
	s_mul_i32 s22, s18, 24
	s_add_i32 s20, s21, s20
	v_mov_b32_e32 v1, s20
	s_waitcnt vmcnt(0)
	v_add_co_u32_e32 v12, vcc, s22, v8
	v_addc_co_u32_e32 v13, vcc, v9, v1, vcc
	s_and_saveexec_b64 s[20:21], s[0:1]
	s_cbranch_execz .LBB4_1042
; %bb.1041:                             ;   in Loop: Header=BB4_3 Depth=1
	v_pk_mov_b32 v[4:5], s[16:17], s[16:17] op_sel:[0,1]
	global_store_dwordx4 v[12:13], v[4:7], off offset:8
.LBB4_1042:                             ;   in Loop: Header=BB4_3 Depth=1
	s_or_b64 exec, exec, s[20:21]
	s_lshl_b64 s[16:17], s[18:19], 12
	v_mov_b32_e32 v1, s17
	v_add_co_u32_e32 v4, vcc, s16, v10
	v_addc_co_u32_e32 v1, vcc, v11, v1, vcc
	v_and_or_b32 v16, v16, s29, 32
	v_mov_b32_e32 v18, v3
	v_mov_b32_e32 v19, v3
	v_readfirstlane_b32 s16, v4
	v_readfirstlane_b32 s17, v1
	s_nop 4
	global_store_dwordx4 v45, v[16:19], s[16:17]
	s_nop 0
	v_pk_mov_b32 v[18:19], s[10:11], s[10:11] op_sel:[0,1]
	v_pk_mov_b32 v[16:17], s[8:9], s[8:9] op_sel:[0,1]
	global_store_dwordx4 v45, v[16:19], s[16:17] offset:16
	global_store_dwordx4 v45, v[16:19], s[16:17] offset:32
	;; [unrolled: 1-line block ×3, first 2 shown]
	s_and_saveexec_b64 s[16:17], s[0:1]
	s_cbranch_execz .LBB4_1050
; %bb.1043:                             ;   in Loop: Header=BB4_3 Depth=1
	global_load_dwordx2 v[20:21], v43, s[2:3] offset:32 glc
	global_load_dwordx2 v[10:11], v43, s[2:3] offset:40
	v_mov_b32_e32 v18, s14
	v_mov_b32_e32 v19, s15
	s_waitcnt vmcnt(0)
	v_readfirstlane_b32 s18, v10
	v_readfirstlane_b32 s19, v11
	s_and_b64 s[18:19], s[18:19], s[14:15]
	s_mul_i32 s19, s19, 24
	s_mul_hi_u32 s20, s18, 24
	s_mul_i32 s18, s18, 24
	s_add_i32 s19, s20, s19
	v_mov_b32_e32 v2, s19
	v_add_co_u32_e32 v16, vcc, s18, v8
	v_addc_co_u32_e32 v17, vcc, v9, v2, vcc
	global_store_dwordx2 v[16:17], v[20:21], off
	buffer_wbl2
	s_waitcnt vmcnt(0)
	global_atomic_cmpswap_x2 v[10:11], v43, v[18:21], s[2:3] offset:32 glc
	s_waitcnt vmcnt(0)
	v_cmp_ne_u64_e32 vcc, v[10:11], v[20:21]
	s_and_saveexec_b64 s[18:19], vcc
	s_cbranch_execz .LBB4_1046
; %bb.1044:                             ;   in Loop: Header=BB4_3 Depth=1
	s_mov_b64 s[20:21], 0
.LBB4_1045:                             ;   Parent Loop BB4_3 Depth=1
                                        ; =>  This Inner Loop Header: Depth=2
	s_sleep 1
	global_store_dwordx2 v[16:17], v[10:11], off
	v_mov_b32_e32 v8, s14
	v_mov_b32_e32 v9, s15
	buffer_wbl2
	s_waitcnt vmcnt(0)
	global_atomic_cmpswap_x2 v[8:9], v43, v[8:11], s[2:3] offset:32 glc
	s_waitcnt vmcnt(0)
	v_cmp_eq_u64_e32 vcc, v[8:9], v[10:11]
	s_or_b64 s[20:21], vcc, s[20:21]
	v_pk_mov_b32 v[10:11], v[8:9], v[8:9] op_sel:[0,1]
	s_andn2_b64 exec, exec, s[20:21]
	s_cbranch_execnz .LBB4_1045
.LBB4_1046:                             ;   in Loop: Header=BB4_3 Depth=1
	s_or_b64 exec, exec, s[18:19]
	global_load_dwordx2 v[8:9], v43, s[2:3] offset:16
	s_mov_b64 s[20:21], exec
	v_mbcnt_lo_u32_b32 v2, s20, 0
	v_mbcnt_hi_u32_b32 v2, s21, v2
	v_cmp_eq_u32_e32 vcc, 0, v2
	s_and_saveexec_b64 s[18:19], vcc
	s_cbranch_execz .LBB4_1048
; %bb.1047:                             ;   in Loop: Header=BB4_3 Depth=1
	s_bcnt1_i32_b64 s20, s[20:21]
	v_mov_b32_e32 v2, s20
	buffer_wbl2
	s_waitcnt vmcnt(0)
	global_atomic_add_x2 v[8:9], v[2:3], off offset:8
.LBB4_1048:                             ;   in Loop: Header=BB4_3 Depth=1
	s_or_b64 exec, exec, s[18:19]
	s_waitcnt vmcnt(0)
	global_load_dwordx2 v[10:11], v[8:9], off offset:16
	s_waitcnt vmcnt(0)
	v_cmp_eq_u64_e32 vcc, 0, v[10:11]
	s_cbranch_vccnz .LBB4_1050
; %bb.1049:                             ;   in Loop: Header=BB4_3 Depth=1
	global_load_dword v42, v[8:9], off offset:24
	s_waitcnt vmcnt(0)
	v_and_b32_e32 v2, 0xffffff, v42
	v_readfirstlane_b32 m0, v2
	buffer_wbl2
	global_store_dwordx2 v[10:11], v[42:43], off
	s_sendmsg sendmsg(MSG_INTERRUPT)
.LBB4_1050:                             ;   in Loop: Header=BB4_3 Depth=1
	s_or_b64 exec, exec, s[16:17]
	v_add_co_u32_e32 v4, vcc, v4, v45
	v_addc_co_u32_e32 v5, vcc, 0, v1, vcc
	s_branch .LBB4_1054
.LBB4_1051:                             ;   in Loop: Header=BB4_1054 Depth=2
	s_or_b64 exec, exec, s[16:17]
	v_readfirstlane_b32 s16, v1
	s_cmp_eq_u32 s16, 0
	s_cbranch_scc1 .LBB4_1053
; %bb.1052:                             ;   in Loop: Header=BB4_1054 Depth=2
	s_sleep 1
	s_cbranch_execnz .LBB4_1054
	s_branch .LBB4_1056
.LBB4_1053:                             ;   in Loop: Header=BB4_3 Depth=1
	s_branch .LBB4_1056
.LBB4_1054:                             ;   Parent Loop BB4_3 Depth=1
                                        ; =>  This Inner Loop Header: Depth=2
	v_mov_b32_e32 v1, 1
	s_and_saveexec_b64 s[16:17], s[0:1]
	s_cbranch_execz .LBB4_1051
; %bb.1055:                             ;   in Loop: Header=BB4_1054 Depth=2
	global_load_dword v1, v[12:13], off offset:20 glc
	s_waitcnt vmcnt(0)
	buffer_invl2
	buffer_wbinvl1_vol
	v_and_b32_e32 v1, 1, v1
	s_branch .LBB4_1051
.LBB4_1056:                             ;   in Loop: Header=BB4_3 Depth=1
	global_load_dwordx2 v[8:9], v[4:5], off
	s_and_saveexec_b64 s[16:17], s[0:1]
	s_cbranch_execz .LBB4_1060
; %bb.1057:                             ;   in Loop: Header=BB4_3 Depth=1
	global_load_dwordx2 v[4:5], v43, s[2:3] offset:40
	global_load_dwordx2 v[16:17], v43, s[2:3] offset:24 glc
	global_load_dwordx2 v[18:19], v43, s[2:3]
	v_mov_b32_e32 v1, s15
	s_waitcnt vmcnt(2)
	v_add_co_u32_e32 v2, vcc, 1, v4
	v_addc_co_u32_e32 v13, vcc, 0, v5, vcc
	v_add_co_u32_e32 v10, vcc, s14, v2
	v_addc_co_u32_e32 v11, vcc, v13, v1, vcc
	v_cmp_eq_u64_e32 vcc, 0, v[10:11]
	v_cndmask_b32_e32 v11, v11, v13, vcc
	v_cndmask_b32_e32 v10, v10, v2, vcc
	v_and_b32_e32 v1, v11, v5
	v_and_b32_e32 v2, v10, v4
	v_mul_lo_u32 v1, v1, 24
	v_mul_hi_u32 v4, v2, 24
	v_mul_lo_u32 v2, v2, 24
	v_add_u32_e32 v1, v4, v1
	s_waitcnt vmcnt(0)
	v_add_co_u32_e32 v4, vcc, v18, v2
	v_addc_co_u32_e32 v5, vcc, v19, v1, vcc
	v_mov_b32_e32 v12, v16
	global_store_dwordx2 v[4:5], v[16:17], off
	v_mov_b32_e32 v13, v17
	buffer_wbl2
	s_waitcnt vmcnt(0)
	global_atomic_cmpswap_x2 v[12:13], v43, v[10:13], s[2:3] offset:24 glc
	s_waitcnt vmcnt(0)
	v_cmp_ne_u64_e32 vcc, v[12:13], v[16:17]
	s_and_b64 exec, exec, vcc
	s_cbranch_execz .LBB4_1060
; %bb.1058:                             ;   in Loop: Header=BB4_3 Depth=1
	s_mov_b64 s[0:1], 0
.LBB4_1059:                             ;   Parent Loop BB4_3 Depth=1
                                        ; =>  This Inner Loop Header: Depth=2
	s_sleep 1
	global_store_dwordx2 v[4:5], v[12:13], off
	buffer_wbl2
	s_waitcnt vmcnt(0)
	global_atomic_cmpswap_x2 v[16:17], v43, v[10:13], s[2:3] offset:24 glc
	s_waitcnt vmcnt(0)
	v_cmp_eq_u64_e32 vcc, v[16:17], v[12:13]
	s_or_b64 s[0:1], vcc, s[0:1]
	v_pk_mov_b32 v[12:13], v[16:17], v[16:17] op_sel:[0,1]
	s_andn2_b64 exec, exec, s[0:1]
	s_cbranch_execnz .LBB4_1059
.LBB4_1060:                             ;   in Loop: Header=BB4_3 Depth=1
	s_or_b64 exec, exec, s[16:17]
	s_and_b64 vcc, exec, s[12:13]
	s_cbranch_vccnz .LBB4_949
.LBB4_1061:                             ;   in Loop: Header=BB4_3 Depth=1
                                        ; implicit-def: $vgpr10_vgpr11
	s_cbranch_execz .LBB4_1089
; %bb.1062:                             ;   in Loop: Header=BB4_3 Depth=1
	v_readfirstlane_b32 s0, v40
	v_cmp_eq_u32_e64 s[0:1], s0, v40
	v_pk_mov_b32 v[4:5], 0, 0
	s_and_saveexec_b64 s[14:15], s[0:1]
	s_cbranch_execz .LBB4_1068
; %bb.1063:                             ;   in Loop: Header=BB4_3 Depth=1
	global_load_dwordx2 v[12:13], v43, s[2:3] offset:24 glc
	s_waitcnt vmcnt(0)
	buffer_invl2
	buffer_wbinvl1_vol
	global_load_dwordx2 v[4:5], v43, s[2:3] offset:40
	global_load_dwordx2 v[10:11], v43, s[2:3]
	s_waitcnt vmcnt(1)
	v_and_b32_e32 v1, v4, v12
	v_and_b32_e32 v2, v5, v13
	v_mul_lo_u32 v2, v2, 24
	v_mul_hi_u32 v4, v1, 24
	v_mul_lo_u32 v1, v1, 24
	v_add_u32_e32 v2, v4, v2
	s_waitcnt vmcnt(0)
	v_add_co_u32_e32 v4, vcc, v10, v1
	v_addc_co_u32_e32 v5, vcc, v11, v2, vcc
	global_load_dwordx2 v[10:11], v[4:5], off glc
	s_waitcnt vmcnt(0)
	global_atomic_cmpswap_x2 v[4:5], v43, v[10:13], s[2:3] offset:24 glc
	s_waitcnt vmcnt(0)
	buffer_invl2
	buffer_wbinvl1_vol
	v_cmp_ne_u64_e32 vcc, v[4:5], v[12:13]
	s_and_saveexec_b64 s[16:17], vcc
	s_cbranch_execz .LBB4_1067
; %bb.1064:                             ;   in Loop: Header=BB4_3 Depth=1
	s_mov_b64 s[18:19], 0
.LBB4_1065:                             ;   Parent Loop BB4_3 Depth=1
                                        ; =>  This Inner Loop Header: Depth=2
	s_sleep 1
	global_load_dwordx2 v[10:11], v43, s[2:3] offset:40
	global_load_dwordx2 v[16:17], v43, s[2:3]
	v_pk_mov_b32 v[12:13], v[4:5], v[4:5] op_sel:[0,1]
	s_waitcnt vmcnt(1)
	v_and_b32_e32 v2, v10, v12
	s_waitcnt vmcnt(0)
	v_mad_u64_u32 v[4:5], s[20:21], v2, 24, v[16:17]
	v_and_b32_e32 v1, v11, v13
	v_mov_b32_e32 v2, v5
	v_mad_u64_u32 v[10:11], s[20:21], v1, 24, v[2:3]
	v_mov_b32_e32 v5, v10
	global_load_dwordx2 v[10:11], v[4:5], off glc
	s_waitcnt vmcnt(0)
	global_atomic_cmpswap_x2 v[4:5], v43, v[10:13], s[2:3] offset:24 glc
	s_waitcnt vmcnt(0)
	buffer_invl2
	buffer_wbinvl1_vol
	v_cmp_eq_u64_e32 vcc, v[4:5], v[12:13]
	s_or_b64 s[18:19], vcc, s[18:19]
	s_andn2_b64 exec, exec, s[18:19]
	s_cbranch_execnz .LBB4_1065
; %bb.1066:                             ;   in Loop: Header=BB4_3 Depth=1
	s_or_b64 exec, exec, s[18:19]
.LBB4_1067:                             ;   in Loop: Header=BB4_3 Depth=1
	s_or_b64 exec, exec, s[16:17]
.LBB4_1068:                             ;   in Loop: Header=BB4_3 Depth=1
	s_or_b64 exec, exec, s[14:15]
	global_load_dwordx2 v[10:11], v43, s[2:3] offset:40
	global_load_dwordx4 v[16:19], v43, s[2:3]
	v_readfirstlane_b32 s14, v4
	v_readfirstlane_b32 s15, v5
	s_mov_b64 s[16:17], exec
	s_waitcnt vmcnt(1)
	v_readfirstlane_b32 s18, v10
	v_readfirstlane_b32 s19, v11
	s_and_b64 s[18:19], s[14:15], s[18:19]
	s_mul_i32 s20, s19, 24
	s_mul_hi_u32 s21, s18, 24
	s_mul_i32 s22, s18, 24
	s_add_i32 s20, s21, s20
	v_mov_b32_e32 v1, s20
	s_waitcnt vmcnt(0)
	v_add_co_u32_e32 v12, vcc, s22, v16
	v_addc_co_u32_e32 v13, vcc, v17, v1, vcc
	s_and_saveexec_b64 s[20:21], s[0:1]
	s_cbranch_execz .LBB4_1070
; %bb.1069:                             ;   in Loop: Header=BB4_3 Depth=1
	v_pk_mov_b32 v[4:5], s[16:17], s[16:17] op_sel:[0,1]
	global_store_dwordx4 v[12:13], v[4:7], off offset:8
.LBB4_1070:                             ;   in Loop: Header=BB4_3 Depth=1
	s_or_b64 exec, exec, s[20:21]
	s_lshl_b64 s[16:17], s[18:19], 12
	v_mov_b32_e32 v1, s17
	v_add_co_u32_e32 v4, vcc, s16, v18
	v_addc_co_u32_e32 v1, vcc, v19, v1, vcc
	v_and_or_b32 v8, v8, s29, 32
	v_mov_b32_e32 v10, v3
	v_mov_b32_e32 v11, v3
	v_readfirstlane_b32 s16, v4
	v_readfirstlane_b32 s17, v1
	s_nop 4
	global_store_dwordx4 v45, v[8:11], s[16:17]
	s_nop 0
	v_pk_mov_b32 v[8:9], s[8:9], s[8:9] op_sel:[0,1]
	v_pk_mov_b32 v[10:11], s[10:11], s[10:11] op_sel:[0,1]
	global_store_dwordx4 v45, v[8:11], s[16:17] offset:16
	global_store_dwordx4 v45, v[8:11], s[16:17] offset:32
	;; [unrolled: 1-line block ×3, first 2 shown]
	s_and_saveexec_b64 s[16:17], s[0:1]
	s_cbranch_execz .LBB4_1078
; %bb.1071:                             ;   in Loop: Header=BB4_3 Depth=1
	global_load_dwordx2 v[20:21], v43, s[2:3] offset:32 glc
	global_load_dwordx2 v[8:9], v43, s[2:3] offset:40
	v_mov_b32_e32 v18, s14
	v_mov_b32_e32 v19, s15
	s_waitcnt vmcnt(0)
	v_readfirstlane_b32 s18, v8
	v_readfirstlane_b32 s19, v9
	s_and_b64 s[18:19], s[18:19], s[14:15]
	s_mul_i32 s19, s19, 24
	s_mul_hi_u32 s20, s18, 24
	s_mul_i32 s18, s18, 24
	s_add_i32 s19, s20, s19
	v_mov_b32_e32 v2, s19
	v_add_co_u32_e32 v16, vcc, s18, v16
	v_addc_co_u32_e32 v17, vcc, v17, v2, vcc
	global_store_dwordx2 v[16:17], v[20:21], off
	buffer_wbl2
	s_waitcnt vmcnt(0)
	global_atomic_cmpswap_x2 v[10:11], v43, v[18:21], s[2:3] offset:32 glc
	s_waitcnt vmcnt(0)
	v_cmp_ne_u64_e32 vcc, v[10:11], v[20:21]
	s_and_saveexec_b64 s[18:19], vcc
	s_cbranch_execz .LBB4_1074
; %bb.1072:                             ;   in Loop: Header=BB4_3 Depth=1
	s_mov_b64 s[20:21], 0
.LBB4_1073:                             ;   Parent Loop BB4_3 Depth=1
                                        ; =>  This Inner Loop Header: Depth=2
	s_sleep 1
	global_store_dwordx2 v[16:17], v[10:11], off
	v_mov_b32_e32 v8, s14
	v_mov_b32_e32 v9, s15
	buffer_wbl2
	s_waitcnt vmcnt(0)
	global_atomic_cmpswap_x2 v[8:9], v43, v[8:11], s[2:3] offset:32 glc
	s_waitcnt vmcnt(0)
	v_cmp_eq_u64_e32 vcc, v[8:9], v[10:11]
	s_or_b64 s[20:21], vcc, s[20:21]
	v_pk_mov_b32 v[10:11], v[8:9], v[8:9] op_sel:[0,1]
	s_andn2_b64 exec, exec, s[20:21]
	s_cbranch_execnz .LBB4_1073
.LBB4_1074:                             ;   in Loop: Header=BB4_3 Depth=1
	s_or_b64 exec, exec, s[18:19]
	global_load_dwordx2 v[8:9], v43, s[2:3] offset:16
	s_mov_b64 s[20:21], exec
	v_mbcnt_lo_u32_b32 v2, s20, 0
	v_mbcnt_hi_u32_b32 v2, s21, v2
	v_cmp_eq_u32_e32 vcc, 0, v2
	s_and_saveexec_b64 s[18:19], vcc
	s_cbranch_execz .LBB4_1076
; %bb.1075:                             ;   in Loop: Header=BB4_3 Depth=1
	s_bcnt1_i32_b64 s20, s[20:21]
	v_mov_b32_e32 v2, s20
	buffer_wbl2
	s_waitcnt vmcnt(0)
	global_atomic_add_x2 v[8:9], v[2:3], off offset:8
.LBB4_1076:                             ;   in Loop: Header=BB4_3 Depth=1
	s_or_b64 exec, exec, s[18:19]
	s_waitcnt vmcnt(0)
	global_load_dwordx2 v[10:11], v[8:9], off offset:16
	s_waitcnt vmcnt(0)
	v_cmp_eq_u64_e32 vcc, 0, v[10:11]
	s_cbranch_vccnz .LBB4_1078
; %bb.1077:                             ;   in Loop: Header=BB4_3 Depth=1
	global_load_dword v42, v[8:9], off offset:24
	s_waitcnt vmcnt(0)
	v_and_b32_e32 v2, 0xffffff, v42
	v_readfirstlane_b32 m0, v2
	buffer_wbl2
	global_store_dwordx2 v[10:11], v[42:43], off
	s_sendmsg sendmsg(MSG_INTERRUPT)
.LBB4_1078:                             ;   in Loop: Header=BB4_3 Depth=1
	s_or_b64 exec, exec, s[16:17]
	v_add_co_u32_e32 v4, vcc, v4, v45
	v_addc_co_u32_e32 v5, vcc, 0, v1, vcc
	s_branch .LBB4_1082
.LBB4_1079:                             ;   in Loop: Header=BB4_1082 Depth=2
	s_or_b64 exec, exec, s[16:17]
	v_readfirstlane_b32 s16, v1
	s_cmp_eq_u32 s16, 0
	s_cbranch_scc1 .LBB4_1081
; %bb.1080:                             ;   in Loop: Header=BB4_1082 Depth=2
	s_sleep 1
	s_cbranch_execnz .LBB4_1082
	s_branch .LBB4_1084
.LBB4_1081:                             ;   in Loop: Header=BB4_3 Depth=1
	s_branch .LBB4_1084
.LBB4_1082:                             ;   Parent Loop BB4_3 Depth=1
                                        ; =>  This Inner Loop Header: Depth=2
	v_mov_b32_e32 v1, 1
	s_and_saveexec_b64 s[16:17], s[0:1]
	s_cbranch_execz .LBB4_1079
; %bb.1083:                             ;   in Loop: Header=BB4_1082 Depth=2
	global_load_dword v1, v[12:13], off offset:20 glc
	s_waitcnt vmcnt(0)
	buffer_invl2
	buffer_wbinvl1_vol
	v_and_b32_e32 v1, 1, v1
	s_branch .LBB4_1079
.LBB4_1084:                             ;   in Loop: Header=BB4_3 Depth=1
	global_load_dwordx2 v[10:11], v[4:5], off
	s_and_saveexec_b64 s[16:17], s[0:1]
	s_cbranch_execz .LBB4_1088
; %bb.1085:                             ;   in Loop: Header=BB4_3 Depth=1
	global_load_dwordx2 v[4:5], v43, s[2:3] offset:40
	global_load_dwordx2 v[8:9], v43, s[2:3] offset:24 glc
	global_load_dwordx2 v[12:13], v43, s[2:3]
	v_mov_b32_e32 v1, s15
	s_waitcnt vmcnt(2)
	v_add_co_u32_e32 v2, vcc, 1, v4
	v_addc_co_u32_e32 v15, vcc, 0, v5, vcc
	v_add_co_u32_e32 v16, vcc, s14, v2
	v_addc_co_u32_e32 v17, vcc, v15, v1, vcc
	v_cmp_eq_u64_e32 vcc, 0, v[16:17]
	v_cndmask_b32_e32 v17, v17, v15, vcc
	v_cndmask_b32_e32 v16, v16, v2, vcc
	v_and_b32_e32 v1, v17, v5
	v_and_b32_e32 v2, v16, v4
	v_mul_lo_u32 v1, v1, 24
	v_mul_hi_u32 v4, v2, 24
	v_mul_lo_u32 v2, v2, 24
	v_add_u32_e32 v1, v4, v1
	s_waitcnt vmcnt(0)
	v_add_co_u32_e32 v4, vcc, v12, v2
	v_addc_co_u32_e32 v5, vcc, v13, v1, vcc
	v_mov_b32_e32 v18, v8
	global_store_dwordx2 v[4:5], v[8:9], off
	v_mov_b32_e32 v19, v9
	buffer_wbl2
	s_waitcnt vmcnt(0)
	global_atomic_cmpswap_x2 v[18:19], v43, v[16:19], s[2:3] offset:24 glc
	s_waitcnt vmcnt(0)
	v_cmp_ne_u64_e32 vcc, v[18:19], v[8:9]
	s_and_b64 exec, exec, vcc
	s_cbranch_execz .LBB4_1088
; %bb.1086:                             ;   in Loop: Header=BB4_3 Depth=1
	s_mov_b64 s[0:1], 0
.LBB4_1087:                             ;   Parent Loop BB4_3 Depth=1
                                        ; =>  This Inner Loop Header: Depth=2
	s_sleep 1
	global_store_dwordx2 v[4:5], v[18:19], off
	buffer_wbl2
	s_waitcnt vmcnt(0)
	global_atomic_cmpswap_x2 v[8:9], v43, v[16:19], s[2:3] offset:24 glc
	s_waitcnt vmcnt(0)
	v_cmp_eq_u64_e32 vcc, v[8:9], v[18:19]
	s_or_b64 s[0:1], vcc, s[0:1]
	v_pk_mov_b32 v[18:19], v[8:9], v[8:9] op_sel:[0,1]
	s_andn2_b64 exec, exec, s[0:1]
	s_cbranch_execnz .LBB4_1087
.LBB4_1088:                             ;   in Loop: Header=BB4_3 Depth=1
	s_or_b64 exec, exec, s[16:17]
.LBB4_1089:                             ;   in Loop: Header=BB4_3 Depth=1
	v_readfirstlane_b32 s0, v40
	v_cmp_eq_u32_e64 s[0:1], s0, v40
	v_pk_mov_b32 v[4:5], 0, 0
	s_and_saveexec_b64 s[14:15], s[0:1]
	s_cbranch_execz .LBB4_1095
; %bb.1090:                             ;   in Loop: Header=BB4_3 Depth=1
	global_load_dwordx2 v[18:19], v43, s[2:3] offset:24 glc
	s_waitcnt vmcnt(0)
	buffer_invl2
	buffer_wbinvl1_vol
	global_load_dwordx2 v[4:5], v43, s[2:3] offset:40
	global_load_dwordx2 v[8:9], v43, s[2:3]
	s_waitcnt vmcnt(1)
	v_and_b32_e32 v1, v4, v18
	v_and_b32_e32 v2, v5, v19
	v_mul_lo_u32 v2, v2, 24
	v_mul_hi_u32 v4, v1, 24
	v_mul_lo_u32 v1, v1, 24
	v_add_u32_e32 v2, v4, v2
	s_waitcnt vmcnt(0)
	v_add_co_u32_e32 v4, vcc, v8, v1
	v_addc_co_u32_e32 v5, vcc, v9, v2, vcc
	global_load_dwordx2 v[16:17], v[4:5], off glc
	s_waitcnt vmcnt(0)
	global_atomic_cmpswap_x2 v[4:5], v43, v[16:19], s[2:3] offset:24 glc
	s_waitcnt vmcnt(0)
	buffer_invl2
	buffer_wbinvl1_vol
	v_cmp_ne_u64_e32 vcc, v[4:5], v[18:19]
	s_and_saveexec_b64 s[16:17], vcc
	s_cbranch_execz .LBB4_1094
; %bb.1091:                             ;   in Loop: Header=BB4_3 Depth=1
	s_mov_b64 s[18:19], 0
.LBB4_1092:                             ;   Parent Loop BB4_3 Depth=1
                                        ; =>  This Inner Loop Header: Depth=2
	s_sleep 1
	global_load_dwordx2 v[8:9], v43, s[2:3] offset:40
	global_load_dwordx2 v[12:13], v43, s[2:3]
	v_pk_mov_b32 v[18:19], v[4:5], v[4:5] op_sel:[0,1]
	s_waitcnt vmcnt(1)
	v_and_b32_e32 v2, v8, v18
	s_waitcnt vmcnt(0)
	v_mad_u64_u32 v[4:5], s[20:21], v2, 24, v[12:13]
	v_and_b32_e32 v1, v9, v19
	v_mov_b32_e32 v2, v5
	v_mad_u64_u32 v[8:9], s[20:21], v1, 24, v[2:3]
	v_mov_b32_e32 v5, v8
	global_load_dwordx2 v[16:17], v[4:5], off glc
	s_waitcnt vmcnt(0)
	global_atomic_cmpswap_x2 v[4:5], v43, v[16:19], s[2:3] offset:24 glc
	s_waitcnt vmcnt(0)
	buffer_invl2
	buffer_wbinvl1_vol
	v_cmp_eq_u64_e32 vcc, v[4:5], v[18:19]
	s_or_b64 s[18:19], vcc, s[18:19]
	s_andn2_b64 exec, exec, s[18:19]
	s_cbranch_execnz .LBB4_1092
; %bb.1093:                             ;   in Loop: Header=BB4_3 Depth=1
	s_or_b64 exec, exec, s[18:19]
.LBB4_1094:                             ;   in Loop: Header=BB4_3 Depth=1
	s_or_b64 exec, exec, s[16:17]
.LBB4_1095:                             ;   in Loop: Header=BB4_3 Depth=1
	s_or_b64 exec, exec, s[14:15]
	global_load_dwordx2 v[8:9], v43, s[2:3] offset:40
	global_load_dwordx4 v[16:19], v43, s[2:3]
	v_readfirstlane_b32 s14, v4
	v_readfirstlane_b32 s15, v5
	s_mov_b64 s[16:17], exec
	s_waitcnt vmcnt(1)
	v_readfirstlane_b32 s18, v8
	v_readfirstlane_b32 s19, v9
	s_and_b64 s[18:19], s[14:15], s[18:19]
	s_mul_i32 s20, s19, 24
	s_mul_hi_u32 s21, s18, 24
	s_mul_i32 s22, s18, 24
	s_add_i32 s20, s21, s20
	v_mov_b32_e32 v1, s20
	s_waitcnt vmcnt(0)
	v_add_co_u32_e32 v20, vcc, s22, v16
	v_addc_co_u32_e32 v21, vcc, v17, v1, vcc
	s_and_saveexec_b64 s[20:21], s[0:1]
	s_cbranch_execz .LBB4_1097
; %bb.1096:                             ;   in Loop: Header=BB4_3 Depth=1
	v_pk_mov_b32 v[4:5], s[16:17], s[16:17] op_sel:[0,1]
	global_store_dwordx4 v[20:21], v[4:7], off offset:8
.LBB4_1097:                             ;   in Loop: Header=BB4_3 Depth=1
	s_or_b64 exec, exec, s[20:21]
	s_lshl_b64 s[16:17], s[18:19], 12
	v_mul_hi_u32 v2, v14, v44
	v_mov_b32_e32 v1, s17
	v_add_co_u32_e32 v4, vcc, s16, v18
	v_mul_lo_u32 v5, v2, v39
	v_addc_co_u32_e32 v1, vcc, v19, v1, vcc
	v_sub_u32_e32 v5, v14, v5
	v_add_u32_e32 v8, 1, v2
	v_cmp_ge_u32_e32 vcc, v5, v39
	v_cndmask_b32_e32 v2, v2, v8, vcc
	v_sub_u32_e32 v8, v5, v39
	v_cndmask_b32_e32 v5, v5, v8, vcc
	v_add_u32_e32 v8, 1, v2
	v_cmp_ge_u32_e32 vcc, v5, v39
	v_cndmask_b32_e32 v12, v2, v8, vcc
	v_and_or_b32 v10, v10, s30, 34
	v_mov_b32_e32 v13, v3
	v_readfirstlane_b32 s16, v4
	v_readfirstlane_b32 s17, v1
	s_nop 4
	global_store_dwordx4 v45, v[10:13], s[16:17]
	v_pk_mov_b32 v[8:9], s[8:9], s[8:9] op_sel:[0,1]
	v_pk_mov_b32 v[10:11], s[10:11], s[10:11] op_sel:[0,1]
	global_store_dwordx4 v45, v[8:11], s[16:17] offset:16
	global_store_dwordx4 v45, v[8:11], s[16:17] offset:32
	;; [unrolled: 1-line block ×3, first 2 shown]
	s_and_saveexec_b64 s[16:17], s[0:1]
	s_cbranch_execz .LBB4_1105
; %bb.1098:                             ;   in Loop: Header=BB4_3 Depth=1
	global_load_dwordx2 v[24:25], v43, s[2:3] offset:32 glc
	global_load_dwordx2 v[8:9], v43, s[2:3] offset:40
	v_mov_b32_e32 v22, s14
	v_mov_b32_e32 v23, s15
	s_waitcnt vmcnt(0)
	v_readfirstlane_b32 s18, v8
	v_readfirstlane_b32 s19, v9
	s_and_b64 s[18:19], s[18:19], s[14:15]
	s_mul_i32 s19, s19, 24
	s_mul_hi_u32 s20, s18, 24
	s_mul_i32 s18, s18, 24
	s_add_i32 s19, s20, s19
	v_mov_b32_e32 v2, s19
	v_add_co_u32_e32 v12, vcc, s18, v16
	v_addc_co_u32_e32 v13, vcc, v17, v2, vcc
	global_store_dwordx2 v[12:13], v[24:25], off
	buffer_wbl2
	s_waitcnt vmcnt(0)
	global_atomic_cmpswap_x2 v[10:11], v43, v[22:25], s[2:3] offset:32 glc
	s_waitcnt vmcnt(0)
	v_cmp_ne_u64_e32 vcc, v[10:11], v[24:25]
	s_and_saveexec_b64 s[18:19], vcc
	s_cbranch_execz .LBB4_1101
; %bb.1099:                             ;   in Loop: Header=BB4_3 Depth=1
	s_mov_b64 s[20:21], 0
.LBB4_1100:                             ;   Parent Loop BB4_3 Depth=1
                                        ; =>  This Inner Loop Header: Depth=2
	s_sleep 1
	global_store_dwordx2 v[12:13], v[10:11], off
	v_mov_b32_e32 v8, s14
	v_mov_b32_e32 v9, s15
	buffer_wbl2
	s_waitcnt vmcnt(0)
	global_atomic_cmpswap_x2 v[8:9], v43, v[8:11], s[2:3] offset:32 glc
	s_waitcnt vmcnt(0)
	v_cmp_eq_u64_e32 vcc, v[8:9], v[10:11]
	s_or_b64 s[20:21], vcc, s[20:21]
	v_pk_mov_b32 v[10:11], v[8:9], v[8:9] op_sel:[0,1]
	s_andn2_b64 exec, exec, s[20:21]
	s_cbranch_execnz .LBB4_1100
.LBB4_1101:                             ;   in Loop: Header=BB4_3 Depth=1
	s_or_b64 exec, exec, s[18:19]
	global_load_dwordx2 v[8:9], v43, s[2:3] offset:16
	s_mov_b64 s[20:21], exec
	v_mbcnt_lo_u32_b32 v2, s20, 0
	v_mbcnt_hi_u32_b32 v2, s21, v2
	v_cmp_eq_u32_e32 vcc, 0, v2
	s_and_saveexec_b64 s[18:19], vcc
	s_cbranch_execz .LBB4_1103
; %bb.1102:                             ;   in Loop: Header=BB4_3 Depth=1
	s_bcnt1_i32_b64 s20, s[20:21]
	v_mov_b32_e32 v2, s20
	buffer_wbl2
	s_waitcnt vmcnt(0)
	global_atomic_add_x2 v[8:9], v[2:3], off offset:8
.LBB4_1103:                             ;   in Loop: Header=BB4_3 Depth=1
	s_or_b64 exec, exec, s[18:19]
	s_waitcnt vmcnt(0)
	global_load_dwordx2 v[10:11], v[8:9], off offset:16
	s_waitcnt vmcnt(0)
	v_cmp_eq_u64_e32 vcc, 0, v[10:11]
	s_cbranch_vccnz .LBB4_1105
; %bb.1104:                             ;   in Loop: Header=BB4_3 Depth=1
	global_load_dword v42, v[8:9], off offset:24
	s_waitcnt vmcnt(0)
	v_and_b32_e32 v2, 0xffffff, v42
	v_readfirstlane_b32 m0, v2
	buffer_wbl2
	global_store_dwordx2 v[10:11], v[42:43], off
	s_sendmsg sendmsg(MSG_INTERRUPT)
.LBB4_1105:                             ;   in Loop: Header=BB4_3 Depth=1
	s_or_b64 exec, exec, s[16:17]
	v_add_co_u32_e32 v4, vcc, v4, v45
	v_addc_co_u32_e32 v5, vcc, 0, v1, vcc
	s_branch .LBB4_1109
.LBB4_1106:                             ;   in Loop: Header=BB4_1109 Depth=2
	s_or_b64 exec, exec, s[16:17]
	v_readfirstlane_b32 s16, v1
	s_cmp_eq_u32 s16, 0
	s_cbranch_scc1 .LBB4_1108
; %bb.1107:                             ;   in Loop: Header=BB4_1109 Depth=2
	s_sleep 1
	s_cbranch_execnz .LBB4_1109
	s_branch .LBB4_1111
.LBB4_1108:                             ;   in Loop: Header=BB4_3 Depth=1
	s_branch .LBB4_1111
.LBB4_1109:                             ;   Parent Loop BB4_3 Depth=1
                                        ; =>  This Inner Loop Header: Depth=2
	v_mov_b32_e32 v1, 1
	s_and_saveexec_b64 s[16:17], s[0:1]
	s_cbranch_execz .LBB4_1106
; %bb.1110:                             ;   in Loop: Header=BB4_1109 Depth=2
	global_load_dword v1, v[20:21], off offset:20 glc
	s_waitcnt vmcnt(0)
	buffer_invl2
	buffer_wbinvl1_vol
	v_and_b32_e32 v1, 1, v1
	s_branch .LBB4_1106
.LBB4_1111:                             ;   in Loop: Header=BB4_3 Depth=1
	global_load_dwordx2 v[4:5], v[4:5], off
	s_and_saveexec_b64 s[16:17], s[0:1]
	s_cbranch_execz .LBB4_2
; %bb.1112:                             ;   in Loop: Header=BB4_3 Depth=1
	global_load_dwordx2 v[12:13], v43, s[2:3] offset:40
	global_load_dwordx2 v[14:15], v43, s[2:3] offset:24 glc
	global_load_dwordx2 v[16:17], v43, s[2:3]
	v_mov_b32_e32 v1, s15
	s_waitcnt vmcnt(2)
	v_add_co_u32_e32 v2, vcc, 1, v12
	v_addc_co_u32_e32 v5, vcc, 0, v13, vcc
	v_add_co_u32_e32 v8, vcc, s14, v2
	v_addc_co_u32_e32 v9, vcc, v5, v1, vcc
	v_cmp_eq_u64_e32 vcc, 0, v[8:9]
	v_cndmask_b32_e32 v9, v9, v5, vcc
	v_cndmask_b32_e32 v8, v8, v2, vcc
	v_and_b32_e32 v1, v9, v13
	v_and_b32_e32 v2, v8, v12
	v_mul_lo_u32 v1, v1, 24
	v_mul_hi_u32 v5, v2, 24
	v_mul_lo_u32 v2, v2, 24
	v_add_u32_e32 v1, v5, v1
	s_waitcnt vmcnt(0)
	v_add_co_u32_e32 v12, vcc, v16, v2
	v_addc_co_u32_e32 v13, vcc, v17, v1, vcc
	v_mov_b32_e32 v10, v14
	global_store_dwordx2 v[12:13], v[14:15], off
	v_mov_b32_e32 v11, v15
	buffer_wbl2
	s_waitcnt vmcnt(0)
	global_atomic_cmpswap_x2 v[10:11], v43, v[8:11], s[2:3] offset:24 glc
	s_waitcnt vmcnt(0)
	v_cmp_ne_u64_e32 vcc, v[10:11], v[14:15]
	s_and_b64 exec, exec, vcc
	s_cbranch_execz .LBB4_2
; %bb.1113:                             ;   in Loop: Header=BB4_3 Depth=1
	s_mov_b64 s[0:1], 0
.LBB4_1114:                             ;   Parent Loop BB4_3 Depth=1
                                        ; =>  This Inner Loop Header: Depth=2
	s_sleep 1
	global_store_dwordx2 v[12:13], v[10:11], off
	buffer_wbl2
	s_waitcnt vmcnt(0)
	global_atomic_cmpswap_x2 v[14:15], v43, v[8:11], s[2:3] offset:24 glc
	s_waitcnt vmcnt(0)
	v_cmp_eq_u64_e32 vcc, v[14:15], v[10:11]
	s_or_b64 s[0:1], vcc, s[0:1]
	v_pk_mov_b32 v[10:11], v[14:15], v[14:15] op_sel:[0,1]
	s_andn2_b64 exec, exec, s[0:1]
	s_cbranch_execnz .LBB4_1114
	s_branch .LBB4_2
.LBB4_1115:
	v_mov_b32_e32 v41, 0
.LBB4_1116:
	s_load_dwordx2 s[0:1], s[4:5], 0x8
	v_mov_b32_e32 v39, 0
	v_lshlrev_b64 v[0:1], 2, v[38:39]
	s_waitcnt lgkmcnt(0)
	v_mov_b32_e32 v2, s1
	v_add_co_u32_e32 v0, vcc, s0, v0
	v_addc_co_u32_e32 v1, vcc, v2, v1, vcc
	global_store_dword v[0:1], v41, off
	s_endpgm
	.section	.rodata,"a",@progbits
	.p2align	6, 0x0
	.amdhsa_kernel _ZN19hipPrintfStressTest21kernel_dependent_calcEjPi
		.amdhsa_group_segment_fixed_size 0
		.amdhsa_private_segment_fixed_size 0
		.amdhsa_kernarg_size 272
		.amdhsa_user_sgpr_count 6
		.amdhsa_user_sgpr_private_segment_buffer 1
		.amdhsa_user_sgpr_dispatch_ptr 0
		.amdhsa_user_sgpr_queue_ptr 0
		.amdhsa_user_sgpr_kernarg_segment_ptr 1
		.amdhsa_user_sgpr_dispatch_id 0
		.amdhsa_user_sgpr_flat_scratch_init 0
		.amdhsa_user_sgpr_kernarg_preload_length 0
		.amdhsa_user_sgpr_kernarg_preload_offset 0
		.amdhsa_user_sgpr_private_segment_size 0
		.amdhsa_uses_dynamic_stack 0
		.amdhsa_system_sgpr_private_segment_wavefront_offset 0
		.amdhsa_system_sgpr_workgroup_id_x 1
		.amdhsa_system_sgpr_workgroup_id_y 0
		.amdhsa_system_sgpr_workgroup_id_z 0
		.amdhsa_system_sgpr_workgroup_info 0
		.amdhsa_system_vgpr_workitem_id 0
		.amdhsa_next_free_vgpr 50
		.amdhsa_next_free_sgpr 34
		.amdhsa_accum_offset 52
		.amdhsa_reserve_vcc 1
		.amdhsa_reserve_flat_scratch 0
		.amdhsa_float_round_mode_32 0
		.amdhsa_float_round_mode_16_64 0
		.amdhsa_float_denorm_mode_32 3
		.amdhsa_float_denorm_mode_16_64 3
		.amdhsa_dx10_clamp 1
		.amdhsa_ieee_mode 1
		.amdhsa_fp16_overflow 0
		.amdhsa_tg_split 0
		.amdhsa_exception_fp_ieee_invalid_op 0
		.amdhsa_exception_fp_denorm_src 0
		.amdhsa_exception_fp_ieee_div_zero 0
		.amdhsa_exception_fp_ieee_overflow 0
		.amdhsa_exception_fp_ieee_underflow 0
		.amdhsa_exception_fp_ieee_inexact 0
		.amdhsa_exception_int_div_zero 0
	.end_amdhsa_kernel
	.text
.Lfunc_end4:
	.size	_ZN19hipPrintfStressTest21kernel_dependent_calcEjPi, .Lfunc_end4-_ZN19hipPrintfStressTest21kernel_dependent_calcEjPi
                                        ; -- End function
	.section	.AMDGPU.csdata,"",@progbits
; Kernel info:
; codeLenInByte = 38008
; NumSgprs: 38
; NumVgprs: 50
; NumAgprs: 0
; TotalNumVgprs: 50
; ScratchSize: 0
; MemoryBound: 0
; FloatMode: 240
; IeeeMode: 1
; LDSByteSize: 0 bytes/workgroup (compile time only)
; SGPRBlocks: 4
; VGPRBlocks: 6
; NumSGPRsForWavesPerEU: 38
; NumVGPRsForWavesPerEU: 50
; AccumOffset: 52
; Occupancy: 8
; WaveLimiterHint : 1
; COMPUTE_PGM_RSRC2:SCRATCH_EN: 0
; COMPUTE_PGM_RSRC2:USER_SGPR: 6
; COMPUTE_PGM_RSRC2:TRAP_HANDLER: 0
; COMPUTE_PGM_RSRC2:TGID_X_EN: 1
; COMPUTE_PGM_RSRC2:TGID_Y_EN: 0
; COMPUTE_PGM_RSRC2:TGID_Z_EN: 0
; COMPUTE_PGM_RSRC2:TIDIG_COMP_CNT: 0
; COMPUTE_PGM_RSRC3_GFX90A:ACCUM_OFFSET: 12
; COMPUTE_PGM_RSRC3_GFX90A:TG_SPLIT: 0
	.text
	.protected	_ZN19hipPrintfStressTest28kernel_dependent_calc_atomicEjPi ; -- Begin function _ZN19hipPrintfStressTest28kernel_dependent_calc_atomicEjPi
	.globl	_ZN19hipPrintfStressTest28kernel_dependent_calc_atomicEjPi
	.p2align	8
	.type	_ZN19hipPrintfStressTest28kernel_dependent_calc_atomicEjPi,@function
_ZN19hipPrintfStressTest28kernel_dependent_calc_atomicEjPi: ; @_ZN19hipPrintfStressTest28kernel_dependent_calc_atomicEjPi
; %bb.0:
	s_load_dword s2, s[6:7], 0x1c
	s_load_dword s28, s[6:7], 0x0
	s_add_u32 s0, s6, 16
	s_addc_u32 s1, s7, 0
	v_and_b32_e32 v1, 0x3ff, v0
	s_waitcnt lgkmcnt(0)
	s_and_b32 s2, s2, 0xffff
	s_mul_i32 s8, s8, s2
	v_add_u32_e32 v30, s8, v1
	s_mov_b32 s8, 0
	s_cmp_eq_u32 s28, 0
	v_mov_b32_e32 v48, 0
	s_cbranch_scc1 .LBB5_1115
; %bb.1:
	s_load_dwordx2 s[2:3], s[4:5], 0x4
	v_bfe_u32 v2, v0, 10, 10
	v_bfe_u32 v0, v0, 20, 10
	v_mov_b32_e32 v3, 0
	v_mov_b32_e32 v35, 0
	s_waitcnt lgkmcnt(0)
	s_lshr_b32 s2, s2, 16
	s_mul_i32 s2, s2, s3
	v_mul_lo_u32 v1, s2, v1
	v_mad_u32_u24 v1, v2, s3, v1
	s_load_dwordx2 s[2:3], s[0:1], 0x50
	s_getpc_b64 s[0:1]
	s_add_u32 s0, s0, .str.7@rel32@lo+4
	s_addc_u32 s1, s1, .str.7@rel32@hi+12
	s_cmp_lg_u64 s[0:1], 0
	s_cselect_b64 s[4:5], -1, 0
	s_getpc_b64 s[0:1]
	s_add_u32 s0, s0, .str.6@rel32@lo+4
	s_addc_u32 s1, s1, .str.6@rel32@hi+12
	v_add_lshl_u32 v31, v1, v0, 2
	v_mbcnt_lo_u32_b32 v0, -1, 0
	s_cmp_lg_u64 s[0:1], 0
	v_add_u32_e32 v33, 0x3000, v31
	v_add_u32_e32 v46, 0x2000, v31
	;; [unrolled: 1-line block ×3, first 2 shown]
	v_mbcnt_hi_u32_b32 v32, -1, v0
	s_cselect_b64 s[12:13], -1, 0
	s_mov_b32 s9, s8
	s_mov_b32 s10, s8
	;; [unrolled: 1-line block ×3, first 2 shown]
	s_movk_i32 s29, 0xff1f
	s_movk_i32 s30, 0xff1d
	v_mov_b32_e32 v6, 2
	v_mov_b32_e32 v7, 1
	v_mov_b32_e32 v0, 33
	s_mov_b32 s31, s8
	v_mov_b32_e32 v48, v3
	s_branch .LBB5_3
.LBB5_2:                                ;   in Loop: Header=BB5_3 Depth=1
	s_or_b64 exec, exec, s[16:17]
	v_add3_u32 v1, v48, v36, v38
	s_add_i32 s31, s31, 1
	s_cmp_eq_u32 s31, s28
	s_waitcnt vmcnt(0)
	v_add3_u32 v48, v1, v40, v4
	s_cbranch_scc1 .LBB5_1115
.LBB5_3:                                ; =>This Loop Header: Depth=1
                                        ;     Child Loop BB5_6 Depth 2
                                        ;     Child Loop BB5_14 Depth 2
                                        ;     Child Loop BB5_23 Depth 2
                                        ;     Child Loop BB5_28 Depth 2
                                        ;     Child Loop BB5_203 Depth 2
                                        ;     Child Loop BB5_211 Depth 2
                                        ;     Child Loop BB5_220 Depth 2
                                        ;     Child Loop BB5_225 Depth 2
                                        ;     Child Loop BB5_32 Depth 2
                                        ;       Child Loop BB5_35 Depth 3
                                        ;       Child Loop BB5_42 Depth 3
                                        ;       Child Loop BB5_50 Depth 3
                                        ;       Child Loop BB5_58 Depth 3
                                        ;       Child Loop BB5_66 Depth 3
                                        ;       Child Loop BB5_74 Depth 3
                                        ;       Child Loop BB5_82 Depth 3
                                        ;       Child Loop BB5_90 Depth 3
                                        ;       Child Loop BB5_98 Depth 3
                                        ;       Child Loop BB5_107 Depth 3
                                        ;       Child Loop BB5_112 Depth 3
                                        ;     Child Loop BB5_231 Depth 2
                                        ;     Child Loop BB5_239 Depth 2
                                        ;     Child Loop BB5_248 Depth 2
                                        ;     Child Loop BB5_253 Depth 2
                                        ;     Child Loop BB5_117 Depth 2
                                        ;       Child Loop BB5_120 Depth 3
                                        ;       Child Loop BB5_127 Depth 3
                                        ;       Child Loop BB5_135 Depth 3
                                        ;       Child Loop BB5_143 Depth 3
                                        ;       Child Loop BB5_151 Depth 3
                                        ;       Child Loop BB5_159 Depth 3
                                        ;       Child Loop BB5_167 Depth 3
                                        ;       Child Loop BB5_175 Depth 3
                                        ;       Child Loop BB5_183 Depth 3
                                        ;       Child Loop BB5_192 Depth 3
                                        ;       Child Loop BB5_197 Depth 3
                                        ;     Child Loop BB5_258 Depth 2
                                        ;     Child Loop BB5_266 Depth 2
                                        ;     Child Loop BB5_275 Depth 2
                                        ;     Child Loop BB5_280 Depth 2
                                        ;     Child Loop BB5_284 Depth 2
                                        ;     Child Loop BB5_292 Depth 2
                                        ;     Child Loop BB5_301 Depth 2
                                        ;     Child Loop BB5_306 Depth 2
                                        ;     Child Loop BB5_481 Depth 2
                                        ;     Child Loop BB5_489 Depth 2
                                        ;     Child Loop BB5_498 Depth 2
                                        ;     Child Loop BB5_503 Depth 2
                                        ;     Child Loop BB5_310 Depth 2
                                        ;       Child Loop BB5_313 Depth 3
                                        ;       Child Loop BB5_320 Depth 3
                                        ;       Child Loop BB5_328 Depth 3
                                        ;       Child Loop BB5_336 Depth 3
                                        ;       Child Loop BB5_344 Depth 3
                                        ;       Child Loop BB5_352 Depth 3
                                        ;       Child Loop BB5_360 Depth 3
                                        ;       Child Loop BB5_368 Depth 3
                                        ;       Child Loop BB5_376 Depth 3
                                        ;       Child Loop BB5_385 Depth 3
                                        ;       Child Loop BB5_390 Depth 3
                                        ;     Child Loop BB5_509 Depth 2
                                        ;     Child Loop BB5_517 Depth 2
                                        ;     Child Loop BB5_526 Depth 2
                                        ;     Child Loop BB5_531 Depth 2
                                        ;     Child Loop BB5_395 Depth 2
                                        ;       Child Loop BB5_398 Depth 3
                                        ;       Child Loop BB5_405 Depth 3
                                        ;       Child Loop BB5_413 Depth 3
                                        ;       Child Loop BB5_421 Depth 3
                                        ;       Child Loop BB5_429 Depth 3
                                        ;       Child Loop BB5_437 Depth 3
                                        ;       Child Loop BB5_445 Depth 3
                                        ;       Child Loop BB5_453 Depth 3
                                        ;       Child Loop BB5_461 Depth 3
                                        ;       Child Loop BB5_470 Depth 3
                                        ;       Child Loop BB5_475 Depth 3
                                        ;     Child Loop BB5_536 Depth 2
                                        ;     Child Loop BB5_544 Depth 2
                                        ;     Child Loop BB5_553 Depth 2
                                        ;     Child Loop BB5_558 Depth 2
	;; [unrolled: 40-line block ×4, first 2 shown]
	v_readfirstlane_b32 s0, v32
	v_add_u32_e32 v37, s31, v30
	v_cmp_eq_u32_e64 s[0:1], s0, v32
	v_pk_mov_b32 v[4:5], 0, 0
	ds_write_b32 v33, v37
	s_and_saveexec_b64 s[14:15], s[0:1]
	s_cbranch_execz .LBB5_9
; %bb.4:                                ;   in Loop: Header=BB5_3 Depth=1
	s_waitcnt lgkmcnt(0)
	global_load_dwordx2 v[10:11], v35, s[2:3] offset:24 glc
	s_waitcnt vmcnt(0)
	buffer_invl2
	buffer_wbinvl1_vol
	global_load_dwordx2 v[4:5], v35, s[2:3] offset:40
	global_load_dwordx2 v[8:9], v35, s[2:3]
	s_waitcnt vmcnt(1)
	v_and_b32_e32 v1, v4, v10
	v_and_b32_e32 v2, v5, v11
	v_mul_lo_u32 v2, v2, 24
	v_mul_hi_u32 v4, v1, 24
	v_mul_lo_u32 v1, v1, 24
	v_add_u32_e32 v2, v4, v2
	s_waitcnt vmcnt(0)
	v_add_co_u32_e32 v4, vcc, v8, v1
	v_addc_co_u32_e32 v5, vcc, v9, v2, vcc
	global_load_dwordx2 v[8:9], v[4:5], off glc
	s_waitcnt vmcnt(0)
	global_atomic_cmpswap_x2 v[4:5], v35, v[8:11], s[2:3] offset:24 glc
	s_waitcnt vmcnt(0)
	buffer_invl2
	buffer_wbinvl1_vol
	v_cmp_ne_u64_e32 vcc, v[4:5], v[10:11]
	s_and_saveexec_b64 s[16:17], vcc
	s_cbranch_execz .LBB5_8
; %bb.5:                                ;   in Loop: Header=BB5_3 Depth=1
	s_mov_b64 s[18:19], 0
.LBB5_6:                                ;   Parent Loop BB5_3 Depth=1
                                        ; =>  This Inner Loop Header: Depth=2
	s_sleep 1
	global_load_dwordx2 v[8:9], v35, s[2:3] offset:40
	global_load_dwordx2 v[12:13], v35, s[2:3]
	v_pk_mov_b32 v[10:11], v[4:5], v[4:5] op_sel:[0,1]
	s_waitcnt vmcnt(1)
	v_and_b32_e32 v2, v8, v10
	s_waitcnt vmcnt(0)
	v_mad_u64_u32 v[4:5], s[20:21], v2, 24, v[12:13]
	v_and_b32_e32 v1, v9, v11
	v_mov_b32_e32 v2, v5
	v_mad_u64_u32 v[8:9], s[20:21], v1, 24, v[2:3]
	v_mov_b32_e32 v5, v8
	global_load_dwordx2 v[8:9], v[4:5], off glc
	s_waitcnt vmcnt(0)
	global_atomic_cmpswap_x2 v[4:5], v35, v[8:11], s[2:3] offset:24 glc
	s_waitcnt vmcnt(0)
	buffer_invl2
	buffer_wbinvl1_vol
	v_cmp_eq_u64_e32 vcc, v[4:5], v[10:11]
	s_or_b64 s[18:19], vcc, s[18:19]
	s_andn2_b64 exec, exec, s[18:19]
	s_cbranch_execnz .LBB5_6
; %bb.7:                                ;   in Loop: Header=BB5_3 Depth=1
	s_or_b64 exec, exec, s[18:19]
.LBB5_8:                                ;   in Loop: Header=BB5_3 Depth=1
	s_or_b64 exec, exec, s[16:17]
.LBB5_9:                                ;   in Loop: Header=BB5_3 Depth=1
	s_or_b64 exec, exec, s[14:15]
	s_waitcnt lgkmcnt(0)
	global_load_dwordx2 v[12:13], v35, s[2:3] offset:40
	global_load_dwordx4 v[8:11], v35, s[2:3]
	v_readfirstlane_b32 s14, v4
	v_readfirstlane_b32 s15, v5
	s_mov_b64 s[16:17], exec
	s_waitcnt vmcnt(1)
	v_readfirstlane_b32 s18, v12
	v_readfirstlane_b32 s19, v13
	s_and_b64 s[18:19], s[14:15], s[18:19]
	s_mul_i32 s20, s19, 24
	s_mul_hi_u32 s21, s18, 24
	s_mul_i32 s22, s18, 24
	s_add_i32 s20, s21, s20
	v_mov_b32_e32 v1, s20
	s_waitcnt vmcnt(0)
	v_add_co_u32_e32 v12, vcc, s22, v8
	v_addc_co_u32_e32 v13, vcc, v9, v1, vcc
	s_and_saveexec_b64 s[20:21], s[0:1]
	s_cbranch_execz .LBB5_11
; %bb.10:                               ;   in Loop: Header=BB5_3 Depth=1
	v_pk_mov_b32 v[4:5], s[16:17], s[16:17] op_sel:[0,1]
	global_store_dwordx4 v[12:13], v[4:7], off offset:8
.LBB5_11:                               ;   in Loop: Header=BB5_3 Depth=1
	s_or_b64 exec, exec, s[20:21]
	s_lshl_b64 s[16:17], s[18:19], 12
	v_mov_b32_e32 v1, s17
	v_add_co_u32_e32 v4, vcc, s16, v10
	v_addc_co_u32_e32 v5, vcc, v11, v1, vcc
	v_pk_mov_b32 v[16:17], s[10:11], s[10:11] op_sel:[0,1]
	v_lshlrev_b32_e32 v49, 6, v32
	v_mov_b32_e32 v1, v3
	v_mov_b32_e32 v2, v3
	v_readfirstlane_b32 s16, v4
	v_readfirstlane_b32 s17, v5
	v_pk_mov_b32 v[14:15], s[8:9], s[8:9] op_sel:[0,1]
	s_nop 3
	global_store_dwordx4 v49, v[0:3], s[16:17]
	global_store_dwordx4 v49, v[14:17], s[16:17] offset:16
	global_store_dwordx4 v49, v[14:17], s[16:17] offset:32
	;; [unrolled: 1-line block ×3, first 2 shown]
	s_and_saveexec_b64 s[16:17], s[0:1]
	s_cbranch_execz .LBB5_19
; %bb.12:                               ;   in Loop: Header=BB5_3 Depth=1
	global_load_dwordx2 v[18:19], v35, s[2:3] offset:32 glc
	global_load_dwordx2 v[10:11], v35, s[2:3] offset:40
	v_mov_b32_e32 v16, s14
	v_mov_b32_e32 v17, s15
	s_waitcnt vmcnt(0)
	v_readfirstlane_b32 s18, v10
	v_readfirstlane_b32 s19, v11
	s_and_b64 s[18:19], s[18:19], s[14:15]
	s_mul_i32 s19, s19, 24
	s_mul_hi_u32 s20, s18, 24
	s_mul_i32 s18, s18, 24
	s_add_i32 s19, s20, s19
	v_mov_b32_e32 v1, s19
	v_add_co_u32_e32 v14, vcc, s18, v8
	v_addc_co_u32_e32 v15, vcc, v9, v1, vcc
	global_store_dwordx2 v[14:15], v[18:19], off
	buffer_wbl2
	s_waitcnt vmcnt(0)
	global_atomic_cmpswap_x2 v[10:11], v35, v[16:19], s[2:3] offset:32 glc
	s_waitcnt vmcnt(0)
	v_cmp_ne_u64_e32 vcc, v[10:11], v[18:19]
	s_and_saveexec_b64 s[18:19], vcc
	s_cbranch_execz .LBB5_15
; %bb.13:                               ;   in Loop: Header=BB5_3 Depth=1
	s_mov_b64 s[20:21], 0
.LBB5_14:                               ;   Parent Loop BB5_3 Depth=1
                                        ; =>  This Inner Loop Header: Depth=2
	s_sleep 1
	global_store_dwordx2 v[14:15], v[10:11], off
	v_mov_b32_e32 v8, s14
	v_mov_b32_e32 v9, s15
	buffer_wbl2
	s_waitcnt vmcnt(0)
	global_atomic_cmpswap_x2 v[8:9], v35, v[8:11], s[2:3] offset:32 glc
	s_waitcnt vmcnt(0)
	v_cmp_eq_u64_e32 vcc, v[8:9], v[10:11]
	s_or_b64 s[20:21], vcc, s[20:21]
	v_pk_mov_b32 v[10:11], v[8:9], v[8:9] op_sel:[0,1]
	s_andn2_b64 exec, exec, s[20:21]
	s_cbranch_execnz .LBB5_14
.LBB5_15:                               ;   in Loop: Header=BB5_3 Depth=1
	s_or_b64 exec, exec, s[18:19]
	global_load_dwordx2 v[8:9], v35, s[2:3] offset:16
	s_mov_b64 s[20:21], exec
	v_mbcnt_lo_u32_b32 v1, s20, 0
	v_mbcnt_hi_u32_b32 v1, s21, v1
	v_cmp_eq_u32_e32 vcc, 0, v1
	s_and_saveexec_b64 s[18:19], vcc
	s_cbranch_execz .LBB5_17
; %bb.16:                               ;   in Loop: Header=BB5_3 Depth=1
	s_bcnt1_i32_b64 s20, s[20:21]
	v_mov_b32_e32 v2, s20
	buffer_wbl2
	s_waitcnt vmcnt(0)
	global_atomic_add_x2 v[8:9], v[2:3], off offset:8
.LBB5_17:                               ;   in Loop: Header=BB5_3 Depth=1
	s_or_b64 exec, exec, s[18:19]
	s_waitcnt vmcnt(0)
	global_load_dwordx2 v[10:11], v[8:9], off offset:16
	s_waitcnt vmcnt(0)
	v_cmp_eq_u64_e32 vcc, 0, v[10:11]
	s_cbranch_vccnz .LBB5_19
; %bb.18:                               ;   in Loop: Header=BB5_3 Depth=1
	global_load_dword v34, v[8:9], off offset:24
	s_waitcnt vmcnt(0)
	v_and_b32_e32 v1, 0xffffff, v34
	v_readfirstlane_b32 m0, v1
	buffer_wbl2
	global_store_dwordx2 v[10:11], v[34:35], off
	s_sendmsg sendmsg(MSG_INTERRUPT)
.LBB5_19:                               ;   in Loop: Header=BB5_3 Depth=1
	s_or_b64 exec, exec, s[16:17]
	v_add_co_u32_e32 v4, vcc, v4, v49
	v_addc_co_u32_e32 v5, vcc, 0, v5, vcc
	s_branch .LBB5_23
.LBB5_20:                               ;   in Loop: Header=BB5_23 Depth=2
	s_or_b64 exec, exec, s[16:17]
	v_readfirstlane_b32 s16, v1
	s_cmp_eq_u32 s16, 0
	s_cbranch_scc1 .LBB5_22
; %bb.21:                               ;   in Loop: Header=BB5_23 Depth=2
	s_sleep 1
	s_cbranch_execnz .LBB5_23
	s_branch .LBB5_25
.LBB5_22:                               ;   in Loop: Header=BB5_3 Depth=1
	s_branch .LBB5_25
.LBB5_23:                               ;   Parent Loop BB5_3 Depth=1
                                        ; =>  This Inner Loop Header: Depth=2
	v_mov_b32_e32 v1, 1
	s_and_saveexec_b64 s[16:17], s[0:1]
	s_cbranch_execz .LBB5_20
; %bb.24:                               ;   in Loop: Header=BB5_23 Depth=2
	global_load_dword v1, v[12:13], off offset:20 glc
	s_waitcnt vmcnt(0)
	buffer_invl2
	buffer_wbinvl1_vol
	v_and_b32_e32 v1, 1, v1
	s_branch .LBB5_20
.LBB5_25:                               ;   in Loop: Header=BB5_3 Depth=1
	global_load_dwordx2 v[12:13], v[4:5], off
	s_and_saveexec_b64 s[16:17], s[0:1]
	s_cbranch_execz .LBB5_29
; %bb.26:                               ;   in Loop: Header=BB5_3 Depth=1
	global_load_dwordx2 v[4:5], v35, s[2:3] offset:40
	global_load_dwordx2 v[14:15], v35, s[2:3] offset:24 glc
	global_load_dwordx2 v[16:17], v35, s[2:3]
	v_mov_b32_e32 v1, s15
	s_waitcnt vmcnt(2)
	v_add_co_u32_e32 v2, vcc, 1, v4
	v_addc_co_u32_e32 v11, vcc, 0, v5, vcc
	v_add_co_u32_e32 v8, vcc, s14, v2
	v_addc_co_u32_e32 v9, vcc, v11, v1, vcc
	v_cmp_eq_u64_e32 vcc, 0, v[8:9]
	v_cndmask_b32_e32 v9, v9, v11, vcc
	v_cndmask_b32_e32 v8, v8, v2, vcc
	v_and_b32_e32 v1, v9, v5
	v_and_b32_e32 v2, v8, v4
	v_mul_lo_u32 v1, v1, 24
	v_mul_hi_u32 v4, v2, 24
	v_mul_lo_u32 v2, v2, 24
	v_add_u32_e32 v1, v4, v1
	s_waitcnt vmcnt(0)
	v_add_co_u32_e32 v4, vcc, v16, v2
	v_addc_co_u32_e32 v5, vcc, v17, v1, vcc
	v_mov_b32_e32 v10, v14
	global_store_dwordx2 v[4:5], v[14:15], off
	v_mov_b32_e32 v11, v15
	buffer_wbl2
	s_waitcnt vmcnt(0)
	global_atomic_cmpswap_x2 v[10:11], v35, v[8:11], s[2:3] offset:24 glc
	s_waitcnt vmcnt(0)
	v_cmp_ne_u64_e32 vcc, v[10:11], v[14:15]
	s_and_b64 exec, exec, vcc
	s_cbranch_execz .LBB5_29
; %bb.27:                               ;   in Loop: Header=BB5_3 Depth=1
	s_mov_b64 s[0:1], 0
.LBB5_28:                               ;   Parent Loop BB5_3 Depth=1
                                        ; =>  This Inner Loop Header: Depth=2
	s_sleep 1
	global_store_dwordx2 v[4:5], v[10:11], off
	buffer_wbl2
	s_waitcnt vmcnt(0)
	global_atomic_cmpswap_x2 v[14:15], v35, v[8:11], s[2:3] offset:24 glc
	s_waitcnt vmcnt(0)
	v_cmp_eq_u64_e32 vcc, v[14:15], v[10:11]
	s_or_b64 s[0:1], vcc, s[0:1]
	v_pk_mov_b32 v[10:11], v[14:15], v[14:15] op_sel:[0,1]
	s_andn2_b64 exec, exec, s[0:1]
	s_cbranch_execnz .LBB5_28
.LBB5_29:                               ;   in Loop: Header=BB5_3 Depth=1
	s_or_b64 exec, exec, s[16:17]
	s_and_b64 vcc, exec, s[4:5]
	s_cbranch_vccz .LBB5_199
; %bb.30:                               ;   in Loop: Header=BB5_3 Depth=1
	s_waitcnt vmcnt(0)
	v_and_b32_e32 v36, 2, v12
	v_and_b32_e32 v8, -3, v12
	v_mov_b32_e32 v9, v13
	s_mov_b64 s[16:17], 6
	s_getpc_b64 s[14:15]
	s_add_u32 s14, s14, .str.7@rel32@lo+4
	s_addc_u32 s15, s15, .str.7@rel32@hi+12
	s_branch .LBB5_32
.LBB5_31:                               ;   in Loop: Header=BB5_32 Depth=2
	s_or_b64 exec, exec, s[22:23]
	s_sub_u32 s16, s16, s18
	s_subb_u32 s17, s17, s19
	s_add_u32 s14, s14, s18
	s_addc_u32 s15, s15, s19
	s_cmp_lg_u64 s[16:17], 0
	s_cbranch_scc0 .LBB5_113
.LBB5_32:                               ;   Parent Loop BB5_3 Depth=1
                                        ; =>  This Loop Header: Depth=2
                                        ;       Child Loop BB5_35 Depth 3
                                        ;       Child Loop BB5_42 Depth 3
                                        ;       Child Loop BB5_50 Depth 3
                                        ;       Child Loop BB5_58 Depth 3
                                        ;       Child Loop BB5_66 Depth 3
                                        ;       Child Loop BB5_74 Depth 3
                                        ;       Child Loop BB5_82 Depth 3
                                        ;       Child Loop BB5_90 Depth 3
                                        ;       Child Loop BB5_98 Depth 3
                                        ;       Child Loop BB5_107 Depth 3
                                        ;       Child Loop BB5_112 Depth 3
	v_cmp_lt_u64_e64 s[0:1], s[16:17], 56
	s_and_b64 s[0:1], s[0:1], exec
	v_cmp_gt_u64_e64 s[0:1], s[16:17], 7
	s_cselect_b32 s19, s17, 0
	s_cselect_b32 s18, s16, 56
	s_and_b64 vcc, exec, s[0:1]
	s_cbranch_vccnz .LBB5_37
; %bb.33:                               ;   in Loop: Header=BB5_32 Depth=2
	s_mov_b64 s[0:1], 0
	s_cmp_eq_u64 s[16:17], 0
	s_waitcnt vmcnt(0)
	v_pk_mov_b32 v[10:11], 0, 0
	s_cbranch_scc1 .LBB5_36
; %bb.34:                               ;   in Loop: Header=BB5_32 Depth=2
	s_lshl_b64 s[20:21], s[18:19], 3
	s_mov_b64 s[22:23], 0
	v_pk_mov_b32 v[10:11], 0, 0
	s_mov_b64 s[24:25], s[14:15]
.LBB5_35:                               ;   Parent Loop BB5_3 Depth=1
                                        ;     Parent Loop BB5_32 Depth=2
                                        ; =>    This Inner Loop Header: Depth=3
	global_load_ubyte v1, v35, s[24:25]
	s_waitcnt vmcnt(0)
	v_and_b32_e32 v34, 0xffff, v1
	v_lshlrev_b64 v[4:5], s22, v[34:35]
	s_add_u32 s22, s22, 8
	s_addc_u32 s23, s23, 0
	s_add_u32 s24, s24, 1
	s_addc_u32 s25, s25, 0
	v_or_b32_e32 v10, v4, v10
	s_cmp_lg_u32 s20, s22
	v_or_b32_e32 v11, v5, v11
	s_cbranch_scc1 .LBB5_35
.LBB5_36:                               ;   in Loop: Header=BB5_32 Depth=2
	s_mov_b32 s24, 0
	s_andn2_b64 vcc, exec, s[0:1]
	s_mov_b64 s[0:1], s[14:15]
	s_cbranch_vccz .LBB5_38
	s_branch .LBB5_39
.LBB5_37:                               ;   in Loop: Header=BB5_32 Depth=2
                                        ; implicit-def: $vgpr10_vgpr11
                                        ; implicit-def: $sgpr24
	s_mov_b64 s[0:1], s[14:15]
.LBB5_38:                               ;   in Loop: Header=BB5_32 Depth=2
	global_load_dwordx2 v[10:11], v35, s[14:15]
	s_add_i32 s24, s18, -8
	s_add_u32 s0, s14, 8
	s_addc_u32 s1, s15, 0
.LBB5_39:                               ;   in Loop: Header=BB5_32 Depth=2
	s_cmp_gt_u32 s24, 7
	s_cbranch_scc1 .LBB5_43
; %bb.40:                               ;   in Loop: Header=BB5_32 Depth=2
	s_cmp_eq_u32 s24, 0
	s_cbranch_scc1 .LBB5_44
; %bb.41:                               ;   in Loop: Header=BB5_32 Depth=2
	s_mov_b64 s[20:21], 0
	v_pk_mov_b32 v[14:15], 0, 0
	s_mov_b64 s[22:23], 0
.LBB5_42:                               ;   Parent Loop BB5_3 Depth=1
                                        ;     Parent Loop BB5_32 Depth=2
                                        ; =>    This Inner Loop Header: Depth=3
	s_add_u32 s26, s0, s22
	s_addc_u32 s27, s1, s23
	global_load_ubyte v1, v35, s[26:27]
	s_add_u32 s22, s22, 1
	s_addc_u32 s23, s23, 0
	s_waitcnt vmcnt(0)
	v_and_b32_e32 v34, 0xffff, v1
	v_lshlrev_b64 v[4:5], s20, v[34:35]
	s_add_u32 s20, s20, 8
	s_addc_u32 s21, s21, 0
	v_or_b32_e32 v14, v4, v14
	s_cmp_lg_u32 s24, s22
	v_or_b32_e32 v15, v5, v15
	s_cbranch_scc1 .LBB5_42
	s_branch .LBB5_45
.LBB5_43:                               ;   in Loop: Header=BB5_32 Depth=2
                                        ; implicit-def: $vgpr14_vgpr15
                                        ; implicit-def: $sgpr25
	s_branch .LBB5_46
.LBB5_44:                               ;   in Loop: Header=BB5_32 Depth=2
	v_pk_mov_b32 v[14:15], 0, 0
.LBB5_45:                               ;   in Loop: Header=BB5_32 Depth=2
	s_mov_b32 s25, 0
	s_cbranch_execnz .LBB5_47
.LBB5_46:                               ;   in Loop: Header=BB5_32 Depth=2
	global_load_dwordx2 v[14:15], v35, s[0:1]
	s_add_i32 s25, s24, -8
	s_add_u32 s0, s0, 8
	s_addc_u32 s1, s1, 0
.LBB5_47:                               ;   in Loop: Header=BB5_32 Depth=2
	s_cmp_gt_u32 s25, 7
	s_cbranch_scc1 .LBB5_51
; %bb.48:                               ;   in Loop: Header=BB5_32 Depth=2
	s_cmp_eq_u32 s25, 0
	s_cbranch_scc1 .LBB5_52
; %bb.49:                               ;   in Loop: Header=BB5_32 Depth=2
	s_mov_b64 s[20:21], 0
	v_pk_mov_b32 v[16:17], 0, 0
	s_mov_b64 s[22:23], 0
.LBB5_50:                               ;   Parent Loop BB5_3 Depth=1
                                        ;     Parent Loop BB5_32 Depth=2
                                        ; =>    This Inner Loop Header: Depth=3
	s_add_u32 s26, s0, s22
	s_addc_u32 s27, s1, s23
	global_load_ubyte v1, v35, s[26:27]
	s_add_u32 s22, s22, 1
	s_addc_u32 s23, s23, 0
	s_waitcnt vmcnt(0)
	v_and_b32_e32 v34, 0xffff, v1
	v_lshlrev_b64 v[4:5], s20, v[34:35]
	s_add_u32 s20, s20, 8
	s_addc_u32 s21, s21, 0
	v_or_b32_e32 v16, v4, v16
	s_cmp_lg_u32 s25, s22
	v_or_b32_e32 v17, v5, v17
	s_cbranch_scc1 .LBB5_50
	s_branch .LBB5_53
.LBB5_51:                               ;   in Loop: Header=BB5_32 Depth=2
                                        ; implicit-def: $sgpr24
	s_branch .LBB5_54
.LBB5_52:                               ;   in Loop: Header=BB5_32 Depth=2
	v_pk_mov_b32 v[16:17], 0, 0
.LBB5_53:                               ;   in Loop: Header=BB5_32 Depth=2
	s_mov_b32 s24, 0
	s_cbranch_execnz .LBB5_55
.LBB5_54:                               ;   in Loop: Header=BB5_32 Depth=2
	global_load_dwordx2 v[16:17], v35, s[0:1]
	s_add_i32 s24, s25, -8
	s_add_u32 s0, s0, 8
	s_addc_u32 s1, s1, 0
.LBB5_55:                               ;   in Loop: Header=BB5_32 Depth=2
	s_cmp_gt_u32 s24, 7
	s_cbranch_scc1 .LBB5_59
; %bb.56:                               ;   in Loop: Header=BB5_32 Depth=2
	s_cmp_eq_u32 s24, 0
	s_cbranch_scc1 .LBB5_60
; %bb.57:                               ;   in Loop: Header=BB5_32 Depth=2
	s_mov_b64 s[20:21], 0
	v_pk_mov_b32 v[18:19], 0, 0
	s_mov_b64 s[22:23], 0
.LBB5_58:                               ;   Parent Loop BB5_3 Depth=1
                                        ;     Parent Loop BB5_32 Depth=2
                                        ; =>    This Inner Loop Header: Depth=3
	s_add_u32 s26, s0, s22
	s_addc_u32 s27, s1, s23
	global_load_ubyte v1, v35, s[26:27]
	s_add_u32 s22, s22, 1
	s_addc_u32 s23, s23, 0
	s_waitcnt vmcnt(0)
	v_and_b32_e32 v34, 0xffff, v1
	v_lshlrev_b64 v[4:5], s20, v[34:35]
	s_add_u32 s20, s20, 8
	s_addc_u32 s21, s21, 0
	v_or_b32_e32 v18, v4, v18
	s_cmp_lg_u32 s24, s22
	v_or_b32_e32 v19, v5, v19
	s_cbranch_scc1 .LBB5_58
	s_branch .LBB5_61
.LBB5_59:                               ;   in Loop: Header=BB5_32 Depth=2
                                        ; implicit-def: $vgpr18_vgpr19
                                        ; implicit-def: $sgpr25
	s_branch .LBB5_62
.LBB5_60:                               ;   in Loop: Header=BB5_32 Depth=2
	v_pk_mov_b32 v[18:19], 0, 0
.LBB5_61:                               ;   in Loop: Header=BB5_32 Depth=2
	s_mov_b32 s25, 0
	s_cbranch_execnz .LBB5_63
.LBB5_62:                               ;   in Loop: Header=BB5_32 Depth=2
	global_load_dwordx2 v[18:19], v35, s[0:1]
	s_add_i32 s25, s24, -8
	s_add_u32 s0, s0, 8
	s_addc_u32 s1, s1, 0
.LBB5_63:                               ;   in Loop: Header=BB5_32 Depth=2
	s_cmp_gt_u32 s25, 7
	s_cbranch_scc1 .LBB5_67
; %bb.64:                               ;   in Loop: Header=BB5_32 Depth=2
	s_cmp_eq_u32 s25, 0
	s_cbranch_scc1 .LBB5_68
; %bb.65:                               ;   in Loop: Header=BB5_32 Depth=2
	s_mov_b64 s[20:21], 0
	v_pk_mov_b32 v[20:21], 0, 0
	s_mov_b64 s[22:23], 0
.LBB5_66:                               ;   Parent Loop BB5_3 Depth=1
                                        ;     Parent Loop BB5_32 Depth=2
                                        ; =>    This Inner Loop Header: Depth=3
	s_add_u32 s26, s0, s22
	s_addc_u32 s27, s1, s23
	global_load_ubyte v1, v35, s[26:27]
	s_add_u32 s22, s22, 1
	s_addc_u32 s23, s23, 0
	s_waitcnt vmcnt(0)
	v_and_b32_e32 v34, 0xffff, v1
	v_lshlrev_b64 v[4:5], s20, v[34:35]
	s_add_u32 s20, s20, 8
	s_addc_u32 s21, s21, 0
	v_or_b32_e32 v20, v4, v20
	s_cmp_lg_u32 s25, s22
	v_or_b32_e32 v21, v5, v21
	s_cbranch_scc1 .LBB5_66
	s_branch .LBB5_69
.LBB5_67:                               ;   in Loop: Header=BB5_32 Depth=2
                                        ; implicit-def: $sgpr24
	s_branch .LBB5_70
.LBB5_68:                               ;   in Loop: Header=BB5_32 Depth=2
	v_pk_mov_b32 v[20:21], 0, 0
.LBB5_69:                               ;   in Loop: Header=BB5_32 Depth=2
	s_mov_b32 s24, 0
	s_cbranch_execnz .LBB5_71
.LBB5_70:                               ;   in Loop: Header=BB5_32 Depth=2
	global_load_dwordx2 v[20:21], v35, s[0:1]
	s_add_i32 s24, s25, -8
	s_add_u32 s0, s0, 8
	s_addc_u32 s1, s1, 0
.LBB5_71:                               ;   in Loop: Header=BB5_32 Depth=2
	s_cmp_gt_u32 s24, 7
	s_cbranch_scc1 .LBB5_75
; %bb.72:                               ;   in Loop: Header=BB5_32 Depth=2
	s_cmp_eq_u32 s24, 0
	s_cbranch_scc1 .LBB5_76
; %bb.73:                               ;   in Loop: Header=BB5_32 Depth=2
	s_mov_b64 s[20:21], 0
	v_pk_mov_b32 v[22:23], 0, 0
	s_mov_b64 s[22:23], 0
.LBB5_74:                               ;   Parent Loop BB5_3 Depth=1
                                        ;     Parent Loop BB5_32 Depth=2
                                        ; =>    This Inner Loop Header: Depth=3
	s_add_u32 s26, s0, s22
	s_addc_u32 s27, s1, s23
	global_load_ubyte v1, v35, s[26:27]
	s_add_u32 s22, s22, 1
	s_addc_u32 s23, s23, 0
	s_waitcnt vmcnt(0)
	v_and_b32_e32 v34, 0xffff, v1
	v_lshlrev_b64 v[4:5], s20, v[34:35]
	s_add_u32 s20, s20, 8
	s_addc_u32 s21, s21, 0
	v_or_b32_e32 v22, v4, v22
	s_cmp_lg_u32 s24, s22
	v_or_b32_e32 v23, v5, v23
	s_cbranch_scc1 .LBB5_74
	s_branch .LBB5_77
.LBB5_75:                               ;   in Loop: Header=BB5_32 Depth=2
                                        ; implicit-def: $vgpr22_vgpr23
                                        ; implicit-def: $sgpr25
	s_branch .LBB5_78
.LBB5_76:                               ;   in Loop: Header=BB5_32 Depth=2
	v_pk_mov_b32 v[22:23], 0, 0
.LBB5_77:                               ;   in Loop: Header=BB5_32 Depth=2
	s_mov_b32 s25, 0
	s_cbranch_execnz .LBB5_79
.LBB5_78:                               ;   in Loop: Header=BB5_32 Depth=2
	global_load_dwordx2 v[22:23], v35, s[0:1]
	s_add_i32 s25, s24, -8
	s_add_u32 s0, s0, 8
	s_addc_u32 s1, s1, 0
.LBB5_79:                               ;   in Loop: Header=BB5_32 Depth=2
	s_cmp_gt_u32 s25, 7
	s_cbranch_scc1 .LBB5_83
; %bb.80:                               ;   in Loop: Header=BB5_32 Depth=2
	s_cmp_eq_u32 s25, 0
	s_cbranch_scc1 .LBB5_84
; %bb.81:                               ;   in Loop: Header=BB5_32 Depth=2
	s_mov_b64 s[20:21], 0
	v_pk_mov_b32 v[24:25], 0, 0
	s_mov_b64 s[22:23], s[0:1]
.LBB5_82:                               ;   Parent Loop BB5_3 Depth=1
                                        ;     Parent Loop BB5_32 Depth=2
                                        ; =>    This Inner Loop Header: Depth=3
	global_load_ubyte v1, v35, s[22:23]
	s_add_i32 s25, s25, -1
	s_waitcnt vmcnt(0)
	v_and_b32_e32 v34, 0xffff, v1
	v_lshlrev_b64 v[4:5], s20, v[34:35]
	s_add_u32 s20, s20, 8
	s_addc_u32 s21, s21, 0
	s_add_u32 s22, s22, 1
	s_addc_u32 s23, s23, 0
	v_or_b32_e32 v24, v4, v24
	s_cmp_lg_u32 s25, 0
	v_or_b32_e32 v25, v5, v25
	s_cbranch_scc1 .LBB5_82
	s_branch .LBB5_85
.LBB5_83:                               ;   in Loop: Header=BB5_32 Depth=2
	s_branch .LBB5_86
.LBB5_84:                               ;   in Loop: Header=BB5_32 Depth=2
	v_pk_mov_b32 v[24:25], 0, 0
.LBB5_85:                               ;   in Loop: Header=BB5_32 Depth=2
	s_cbranch_execnz .LBB5_87
.LBB5_86:                               ;   in Loop: Header=BB5_32 Depth=2
	global_load_dwordx2 v[24:25], v35, s[0:1]
.LBB5_87:                               ;   in Loop: Header=BB5_32 Depth=2
	v_readfirstlane_b32 s0, v32
	v_cmp_eq_u32_e64 s[0:1], s0, v32
	v_pk_mov_b32 v[4:5], 0, 0
	s_and_saveexec_b64 s[20:21], s[0:1]
	s_cbranch_execz .LBB5_93
; %bb.88:                               ;   in Loop: Header=BB5_32 Depth=2
	global_load_dwordx2 v[28:29], v35, s[2:3] offset:24 glc
	s_waitcnt vmcnt(0)
	buffer_invl2
	buffer_wbinvl1_vol
	global_load_dwordx2 v[4:5], v35, s[2:3] offset:40
	global_load_dwordx2 v[26:27], v35, s[2:3]
	s_waitcnt vmcnt(1)
	v_and_b32_e32 v1, v4, v28
	v_and_b32_e32 v2, v5, v29
	v_mul_lo_u32 v2, v2, 24
	v_mul_hi_u32 v4, v1, 24
	v_mul_lo_u32 v1, v1, 24
	v_add_u32_e32 v2, v4, v2
	s_waitcnt vmcnt(0)
	v_add_co_u32_e32 v4, vcc, v26, v1
	v_addc_co_u32_e32 v5, vcc, v27, v2, vcc
	global_load_dwordx2 v[26:27], v[4:5], off glc
	s_waitcnt vmcnt(0)
	global_atomic_cmpswap_x2 v[4:5], v35, v[26:29], s[2:3] offset:24 glc
	s_waitcnt vmcnt(0)
	buffer_invl2
	buffer_wbinvl1_vol
	v_cmp_ne_u64_e32 vcc, v[4:5], v[28:29]
	s_and_saveexec_b64 s[22:23], vcc
	s_cbranch_execz .LBB5_92
; %bb.89:                               ;   in Loop: Header=BB5_32 Depth=2
	s_mov_b64 s[24:25], 0
.LBB5_90:                               ;   Parent Loop BB5_3 Depth=1
                                        ;     Parent Loop BB5_32 Depth=2
                                        ; =>    This Inner Loop Header: Depth=3
	s_sleep 1
	global_load_dwordx2 v[26:27], v35, s[2:3] offset:40
	global_load_dwordx2 v[38:39], v35, s[2:3]
	v_pk_mov_b32 v[28:29], v[4:5], v[4:5] op_sel:[0,1]
	s_waitcnt vmcnt(1)
	v_and_b32_e32 v2, v26, v28
	s_waitcnt vmcnt(0)
	v_mad_u64_u32 v[4:5], s[26:27], v2, 24, v[38:39]
	v_and_b32_e32 v1, v27, v29
	v_mov_b32_e32 v2, v5
	v_mad_u64_u32 v[26:27], s[26:27], v1, 24, v[2:3]
	v_mov_b32_e32 v5, v26
	global_load_dwordx2 v[26:27], v[4:5], off glc
	s_waitcnt vmcnt(0)
	global_atomic_cmpswap_x2 v[4:5], v35, v[26:29], s[2:3] offset:24 glc
	s_waitcnt vmcnt(0)
	buffer_invl2
	buffer_wbinvl1_vol
	v_cmp_eq_u64_e32 vcc, v[4:5], v[28:29]
	s_or_b64 s[24:25], vcc, s[24:25]
	s_andn2_b64 exec, exec, s[24:25]
	s_cbranch_execnz .LBB5_90
; %bb.91:                               ;   in Loop: Header=BB5_32 Depth=2
	s_or_b64 exec, exec, s[24:25]
.LBB5_92:                               ;   in Loop: Header=BB5_32 Depth=2
	s_or_b64 exec, exec, s[22:23]
.LBB5_93:                               ;   in Loop: Header=BB5_32 Depth=2
	s_or_b64 exec, exec, s[20:21]
	global_load_dwordx2 v[38:39], v35, s[2:3] offset:40
	global_load_dwordx4 v[26:29], v35, s[2:3]
	v_readfirstlane_b32 s20, v4
	v_readfirstlane_b32 s21, v5
	s_mov_b64 s[22:23], exec
	s_waitcnt vmcnt(1)
	v_readfirstlane_b32 s24, v38
	v_readfirstlane_b32 s25, v39
	s_and_b64 s[24:25], s[20:21], s[24:25]
	s_mul_i32 s26, s25, 24
	s_mul_hi_u32 s27, s24, 24
	s_mul_i32 s33, s24, 24
	s_add_i32 s26, s27, s26
	v_mov_b32_e32 v1, s26
	s_waitcnt vmcnt(0)
	v_add_co_u32_e32 v38, vcc, s33, v26
	v_addc_co_u32_e32 v39, vcc, v27, v1, vcc
	s_and_saveexec_b64 s[26:27], s[0:1]
	s_cbranch_execz .LBB5_95
; %bb.94:                               ;   in Loop: Header=BB5_32 Depth=2
	v_pk_mov_b32 v[4:5], s[22:23], s[22:23] op_sel:[0,1]
	global_store_dwordx4 v[38:39], v[4:7], off offset:8
.LBB5_95:                               ;   in Loop: Header=BB5_32 Depth=2
	s_or_b64 exec, exec, s[26:27]
	s_lshl_b64 s[22:23], s[24:25], 12
	v_mov_b32_e32 v1, s23
	v_add_co_u32_e32 v4, vcc, s22, v28
	v_addc_co_u32_e32 v1, vcc, v29, v1, vcc
	v_or_b32_e32 v2, 0, v9
	v_or_b32_e32 v5, v8, v36
	v_cmp_gt_u64_e64 vcc, s[16:17], 56
	s_lshl_b32 s22, s18, 2
	v_cndmask_b32_e32 v9, v2, v9, vcc
	v_cndmask_b32_e32 v2, v5, v8, vcc
	s_add_i32 s22, s22, 28
	s_and_b32 s22, s22, 0x1e0
	v_and_b32_e32 v2, 0xffffff1f, v2
	v_or_b32_e32 v8, s22, v2
	v_readfirstlane_b32 s22, v4
	v_readfirstlane_b32 s23, v1
	s_nop 4
	global_store_dwordx4 v49, v[8:11], s[22:23]
	global_store_dwordx4 v49, v[14:17], s[22:23] offset:16
	global_store_dwordx4 v49, v[18:21], s[22:23] offset:32
	;; [unrolled: 1-line block ×3, first 2 shown]
	s_and_saveexec_b64 s[22:23], s[0:1]
	s_cbranch_execz .LBB5_103
; %bb.96:                               ;   in Loop: Header=BB5_32 Depth=2
	global_load_dwordx2 v[18:19], v35, s[2:3] offset:32 glc
	global_load_dwordx2 v[8:9], v35, s[2:3] offset:40
	v_mov_b32_e32 v16, s20
	v_mov_b32_e32 v17, s21
	s_waitcnt vmcnt(0)
	v_readfirstlane_b32 s24, v8
	v_readfirstlane_b32 s25, v9
	s_and_b64 s[24:25], s[24:25], s[20:21]
	s_mul_i32 s25, s25, 24
	s_mul_hi_u32 s26, s24, 24
	s_mul_i32 s24, s24, 24
	s_add_i32 s25, s26, s25
	v_mov_b32_e32 v2, s25
	v_add_co_u32_e32 v14, vcc, s24, v26
	v_addc_co_u32_e32 v15, vcc, v27, v2, vcc
	global_store_dwordx2 v[14:15], v[18:19], off
	buffer_wbl2
	s_waitcnt vmcnt(0)
	global_atomic_cmpswap_x2 v[10:11], v35, v[16:19], s[2:3] offset:32 glc
	s_waitcnt vmcnt(0)
	v_cmp_ne_u64_e32 vcc, v[10:11], v[18:19]
	s_and_saveexec_b64 s[24:25], vcc
	s_cbranch_execz .LBB5_99
; %bb.97:                               ;   in Loop: Header=BB5_32 Depth=2
	s_mov_b64 s[26:27], 0
.LBB5_98:                               ;   Parent Loop BB5_3 Depth=1
                                        ;     Parent Loop BB5_32 Depth=2
                                        ; =>    This Inner Loop Header: Depth=3
	s_sleep 1
	global_store_dwordx2 v[14:15], v[10:11], off
	v_mov_b32_e32 v8, s20
	v_mov_b32_e32 v9, s21
	buffer_wbl2
	s_waitcnt vmcnt(0)
	global_atomic_cmpswap_x2 v[8:9], v35, v[8:11], s[2:3] offset:32 glc
	s_waitcnt vmcnt(0)
	v_cmp_eq_u64_e32 vcc, v[8:9], v[10:11]
	s_or_b64 s[26:27], vcc, s[26:27]
	v_pk_mov_b32 v[10:11], v[8:9], v[8:9] op_sel:[0,1]
	s_andn2_b64 exec, exec, s[26:27]
	s_cbranch_execnz .LBB5_98
.LBB5_99:                               ;   in Loop: Header=BB5_32 Depth=2
	s_or_b64 exec, exec, s[24:25]
	global_load_dwordx2 v[8:9], v35, s[2:3] offset:16
	s_mov_b64 s[26:27], exec
	v_mbcnt_lo_u32_b32 v2, s26, 0
	v_mbcnt_hi_u32_b32 v2, s27, v2
	v_cmp_eq_u32_e32 vcc, 0, v2
	s_and_saveexec_b64 s[24:25], vcc
	s_cbranch_execz .LBB5_101
; %bb.100:                              ;   in Loop: Header=BB5_32 Depth=2
	s_bcnt1_i32_b64 s26, s[26:27]
	v_mov_b32_e32 v2, s26
	buffer_wbl2
	s_waitcnt vmcnt(0)
	global_atomic_add_x2 v[8:9], v[2:3], off offset:8
.LBB5_101:                              ;   in Loop: Header=BB5_32 Depth=2
	s_or_b64 exec, exec, s[24:25]
	s_waitcnt vmcnt(0)
	global_load_dwordx2 v[10:11], v[8:9], off offset:16
	s_waitcnt vmcnt(0)
	v_cmp_eq_u64_e32 vcc, 0, v[10:11]
	s_cbranch_vccnz .LBB5_103
; %bb.102:                              ;   in Loop: Header=BB5_32 Depth=2
	global_load_dword v34, v[8:9], off offset:24
	s_waitcnt vmcnt(0)
	v_and_b32_e32 v2, 0xffffff, v34
	v_readfirstlane_b32 m0, v2
	buffer_wbl2
	global_store_dwordx2 v[10:11], v[34:35], off
	s_sendmsg sendmsg(MSG_INTERRUPT)
.LBB5_103:                              ;   in Loop: Header=BB5_32 Depth=2
	s_or_b64 exec, exec, s[22:23]
	v_add_co_u32_e32 v4, vcc, v4, v49
	v_addc_co_u32_e32 v5, vcc, 0, v1, vcc
	s_branch .LBB5_107
.LBB5_104:                              ;   in Loop: Header=BB5_107 Depth=3
	s_or_b64 exec, exec, s[22:23]
	v_readfirstlane_b32 s22, v1
	s_cmp_eq_u32 s22, 0
	s_cbranch_scc1 .LBB5_106
; %bb.105:                              ;   in Loop: Header=BB5_107 Depth=3
	s_sleep 1
	s_cbranch_execnz .LBB5_107
	s_branch .LBB5_109
.LBB5_106:                              ;   in Loop: Header=BB5_32 Depth=2
	s_branch .LBB5_109
.LBB5_107:                              ;   Parent Loop BB5_3 Depth=1
                                        ;     Parent Loop BB5_32 Depth=2
                                        ; =>    This Inner Loop Header: Depth=3
	v_mov_b32_e32 v1, 1
	s_and_saveexec_b64 s[22:23], s[0:1]
	s_cbranch_execz .LBB5_104
; %bb.108:                              ;   in Loop: Header=BB5_107 Depth=3
	global_load_dword v1, v[38:39], off offset:20 glc
	s_waitcnt vmcnt(0)
	buffer_invl2
	buffer_wbinvl1_vol
	v_and_b32_e32 v1, 1, v1
	s_branch .LBB5_104
.LBB5_109:                              ;   in Loop: Header=BB5_32 Depth=2
	global_load_dwordx4 v[8:11], v[4:5], off
	s_and_saveexec_b64 s[22:23], s[0:1]
	s_cbranch_execz .LBB5_31
; %bb.110:                              ;   in Loop: Header=BB5_32 Depth=2
	global_load_dwordx2 v[4:5], v35, s[2:3] offset:40
	global_load_dwordx2 v[10:11], v35, s[2:3] offset:24 glc
	global_load_dwordx2 v[18:19], v35, s[2:3]
	v_mov_b32_e32 v1, s21
	s_waitcnt vmcnt(2)
	v_add_co_u32_e32 v2, vcc, 1, v4
	v_addc_co_u32_e32 v17, vcc, 0, v5, vcc
	v_add_co_u32_e32 v14, vcc, s20, v2
	v_addc_co_u32_e32 v15, vcc, v17, v1, vcc
	v_cmp_eq_u64_e32 vcc, 0, v[14:15]
	v_cndmask_b32_e32 v15, v15, v17, vcc
	v_cndmask_b32_e32 v14, v14, v2, vcc
	v_and_b32_e32 v1, v15, v5
	v_and_b32_e32 v2, v14, v4
	v_mul_lo_u32 v1, v1, 24
	v_mul_hi_u32 v4, v2, 24
	v_mul_lo_u32 v2, v2, 24
	v_add_u32_e32 v1, v4, v1
	s_waitcnt vmcnt(0)
	v_add_co_u32_e32 v4, vcc, v18, v2
	v_addc_co_u32_e32 v5, vcc, v19, v1, vcc
	v_mov_b32_e32 v16, v10
	global_store_dwordx2 v[4:5], v[10:11], off
	v_mov_b32_e32 v17, v11
	buffer_wbl2
	s_waitcnt vmcnt(0)
	global_atomic_cmpswap_x2 v[16:17], v35, v[14:17], s[2:3] offset:24 glc
	s_waitcnt vmcnt(0)
	v_cmp_ne_u64_e32 vcc, v[16:17], v[10:11]
	s_and_b64 exec, exec, vcc
	s_cbranch_execz .LBB5_31
; %bb.111:                              ;   in Loop: Header=BB5_32 Depth=2
	s_mov_b64 s[0:1], 0
.LBB5_112:                              ;   Parent Loop BB5_3 Depth=1
                                        ;     Parent Loop BB5_32 Depth=2
                                        ; =>    This Inner Loop Header: Depth=3
	s_sleep 1
	global_store_dwordx2 v[4:5], v[16:17], off
	buffer_wbl2
	s_waitcnt vmcnt(0)
	global_atomic_cmpswap_x2 v[10:11], v35, v[14:17], s[2:3] offset:24 glc
	s_waitcnt vmcnt(0)
	v_cmp_eq_u64_e32 vcc, v[10:11], v[16:17]
	s_or_b64 s[0:1], vcc, s[0:1]
	v_pk_mov_b32 v[16:17], v[10:11], v[10:11] op_sel:[0,1]
	s_andn2_b64 exec, exec, s[0:1]
	s_cbranch_execnz .LBB5_112
	s_branch .LBB5_31
.LBB5_113:                              ;   in Loop: Header=BB5_3 Depth=1
.LBB5_114:                              ;   in Loop: Header=BB5_3 Depth=1
	s_and_b64 vcc, exec, s[12:13]
	s_cbranch_vccz .LBB5_227
.LBB5_115:                              ;   in Loop: Header=BB5_3 Depth=1
	s_waitcnt vmcnt(0)
	v_and_b32_e32 v36, 2, v8
	v_and_b32_e32 v10, -3, v8
	v_mov_b32_e32 v11, v9
	s_mov_b64 s[16:17], 45
	s_getpc_b64 s[14:15]
	s_add_u32 s14, s14, .str.6@rel32@lo+4
	s_addc_u32 s15, s15, .str.6@rel32@hi+12
	s_branch .LBB5_117
.LBB5_116:                              ;   in Loop: Header=BB5_117 Depth=2
	s_or_b64 exec, exec, s[22:23]
	s_sub_u32 s16, s16, s18
	s_subb_u32 s17, s17, s19
	s_add_u32 s14, s14, s18
	s_addc_u32 s15, s15, s19
	s_cmp_lg_u64 s[16:17], 0
	s_cbranch_scc0 .LBB5_198
.LBB5_117:                              ;   Parent Loop BB5_3 Depth=1
                                        ; =>  This Loop Header: Depth=2
                                        ;       Child Loop BB5_120 Depth 3
                                        ;       Child Loop BB5_127 Depth 3
                                        ;       Child Loop BB5_135 Depth 3
                                        ;       Child Loop BB5_143 Depth 3
                                        ;       Child Loop BB5_151 Depth 3
                                        ;       Child Loop BB5_159 Depth 3
                                        ;       Child Loop BB5_167 Depth 3
                                        ;       Child Loop BB5_175 Depth 3
                                        ;       Child Loop BB5_183 Depth 3
                                        ;       Child Loop BB5_192 Depth 3
                                        ;       Child Loop BB5_197 Depth 3
	v_cmp_lt_u64_e64 s[0:1], s[16:17], 56
	s_and_b64 s[0:1], s[0:1], exec
	v_cmp_gt_u64_e64 s[0:1], s[16:17], 7
	s_cselect_b32 s19, s17, 0
	s_cselect_b32 s18, s16, 56
	s_and_b64 vcc, exec, s[0:1]
	s_cbranch_vccnz .LBB5_122
; %bb.118:                              ;   in Loop: Header=BB5_117 Depth=2
	s_mov_b64 s[0:1], 0
	s_cmp_eq_u64 s[16:17], 0
	s_waitcnt vmcnt(0)
	v_pk_mov_b32 v[12:13], 0, 0
	s_cbranch_scc1 .LBB5_121
; %bb.119:                              ;   in Loop: Header=BB5_117 Depth=2
	s_lshl_b64 s[20:21], s[18:19], 3
	s_mov_b64 s[22:23], 0
	v_pk_mov_b32 v[12:13], 0, 0
	s_mov_b64 s[24:25], s[14:15]
.LBB5_120:                              ;   Parent Loop BB5_3 Depth=1
                                        ;     Parent Loop BB5_117 Depth=2
                                        ; =>    This Inner Loop Header: Depth=3
	global_load_ubyte v1, v35, s[24:25]
	s_waitcnt vmcnt(0)
	v_and_b32_e32 v34, 0xffff, v1
	v_lshlrev_b64 v[4:5], s22, v[34:35]
	s_add_u32 s22, s22, 8
	s_addc_u32 s23, s23, 0
	s_add_u32 s24, s24, 1
	s_addc_u32 s25, s25, 0
	v_or_b32_e32 v12, v4, v12
	s_cmp_lg_u32 s20, s22
	v_or_b32_e32 v13, v5, v13
	s_cbranch_scc1 .LBB5_120
.LBB5_121:                              ;   in Loop: Header=BB5_117 Depth=2
	s_mov_b32 s24, 0
	s_andn2_b64 vcc, exec, s[0:1]
	s_mov_b64 s[0:1], s[14:15]
	s_cbranch_vccz .LBB5_123
	s_branch .LBB5_124
.LBB5_122:                              ;   in Loop: Header=BB5_117 Depth=2
                                        ; implicit-def: $vgpr12_vgpr13
                                        ; implicit-def: $sgpr24
	s_mov_b64 s[0:1], s[14:15]
.LBB5_123:                              ;   in Loop: Header=BB5_117 Depth=2
	global_load_dwordx2 v[12:13], v35, s[14:15]
	s_add_i32 s24, s18, -8
	s_add_u32 s0, s14, 8
	s_addc_u32 s1, s15, 0
.LBB5_124:                              ;   in Loop: Header=BB5_117 Depth=2
	s_cmp_gt_u32 s24, 7
	s_cbranch_scc1 .LBB5_128
; %bb.125:                              ;   in Loop: Header=BB5_117 Depth=2
	s_cmp_eq_u32 s24, 0
	s_cbranch_scc1 .LBB5_129
; %bb.126:                              ;   in Loop: Header=BB5_117 Depth=2
	s_mov_b64 s[20:21], 0
	v_pk_mov_b32 v[14:15], 0, 0
	s_mov_b64 s[22:23], 0
.LBB5_127:                              ;   Parent Loop BB5_3 Depth=1
                                        ;     Parent Loop BB5_117 Depth=2
                                        ; =>    This Inner Loop Header: Depth=3
	s_add_u32 s26, s0, s22
	s_addc_u32 s27, s1, s23
	global_load_ubyte v1, v35, s[26:27]
	s_add_u32 s22, s22, 1
	s_addc_u32 s23, s23, 0
	s_waitcnt vmcnt(0)
	v_and_b32_e32 v34, 0xffff, v1
	v_lshlrev_b64 v[4:5], s20, v[34:35]
	s_add_u32 s20, s20, 8
	s_addc_u32 s21, s21, 0
	v_or_b32_e32 v14, v4, v14
	s_cmp_lg_u32 s24, s22
	v_or_b32_e32 v15, v5, v15
	s_cbranch_scc1 .LBB5_127
	s_branch .LBB5_130
.LBB5_128:                              ;   in Loop: Header=BB5_117 Depth=2
                                        ; implicit-def: $vgpr14_vgpr15
                                        ; implicit-def: $sgpr25
	s_branch .LBB5_131
.LBB5_129:                              ;   in Loop: Header=BB5_117 Depth=2
	v_pk_mov_b32 v[14:15], 0, 0
.LBB5_130:                              ;   in Loop: Header=BB5_117 Depth=2
	s_mov_b32 s25, 0
	s_cbranch_execnz .LBB5_132
.LBB5_131:                              ;   in Loop: Header=BB5_117 Depth=2
	global_load_dwordx2 v[14:15], v35, s[0:1]
	s_add_i32 s25, s24, -8
	s_add_u32 s0, s0, 8
	s_addc_u32 s1, s1, 0
.LBB5_132:                              ;   in Loop: Header=BB5_117 Depth=2
	s_cmp_gt_u32 s25, 7
	s_cbranch_scc1 .LBB5_136
; %bb.133:                              ;   in Loop: Header=BB5_117 Depth=2
	s_cmp_eq_u32 s25, 0
	s_cbranch_scc1 .LBB5_137
; %bb.134:                              ;   in Loop: Header=BB5_117 Depth=2
	s_mov_b64 s[20:21], 0
	v_pk_mov_b32 v[16:17], 0, 0
	s_mov_b64 s[22:23], 0
.LBB5_135:                              ;   Parent Loop BB5_3 Depth=1
                                        ;     Parent Loop BB5_117 Depth=2
                                        ; =>    This Inner Loop Header: Depth=3
	s_add_u32 s26, s0, s22
	s_addc_u32 s27, s1, s23
	global_load_ubyte v1, v35, s[26:27]
	s_add_u32 s22, s22, 1
	s_addc_u32 s23, s23, 0
	s_waitcnt vmcnt(0)
	v_and_b32_e32 v34, 0xffff, v1
	v_lshlrev_b64 v[4:5], s20, v[34:35]
	s_add_u32 s20, s20, 8
	s_addc_u32 s21, s21, 0
	v_or_b32_e32 v16, v4, v16
	s_cmp_lg_u32 s25, s22
	v_or_b32_e32 v17, v5, v17
	s_cbranch_scc1 .LBB5_135
	s_branch .LBB5_138
.LBB5_136:                              ;   in Loop: Header=BB5_117 Depth=2
                                        ; implicit-def: $sgpr24
	s_branch .LBB5_139
.LBB5_137:                              ;   in Loop: Header=BB5_117 Depth=2
	v_pk_mov_b32 v[16:17], 0, 0
.LBB5_138:                              ;   in Loop: Header=BB5_117 Depth=2
	s_mov_b32 s24, 0
	s_cbranch_execnz .LBB5_140
.LBB5_139:                              ;   in Loop: Header=BB5_117 Depth=2
	global_load_dwordx2 v[16:17], v35, s[0:1]
	s_add_i32 s24, s25, -8
	s_add_u32 s0, s0, 8
	s_addc_u32 s1, s1, 0
.LBB5_140:                              ;   in Loop: Header=BB5_117 Depth=2
	s_cmp_gt_u32 s24, 7
	s_cbranch_scc1 .LBB5_144
; %bb.141:                              ;   in Loop: Header=BB5_117 Depth=2
	s_cmp_eq_u32 s24, 0
	s_cbranch_scc1 .LBB5_145
; %bb.142:                              ;   in Loop: Header=BB5_117 Depth=2
	s_mov_b64 s[20:21], 0
	v_pk_mov_b32 v[18:19], 0, 0
	s_mov_b64 s[22:23], 0
.LBB5_143:                              ;   Parent Loop BB5_3 Depth=1
                                        ;     Parent Loop BB5_117 Depth=2
                                        ; =>    This Inner Loop Header: Depth=3
	s_add_u32 s26, s0, s22
	s_addc_u32 s27, s1, s23
	global_load_ubyte v1, v35, s[26:27]
	s_add_u32 s22, s22, 1
	s_addc_u32 s23, s23, 0
	s_waitcnt vmcnt(0)
	v_and_b32_e32 v34, 0xffff, v1
	v_lshlrev_b64 v[4:5], s20, v[34:35]
	s_add_u32 s20, s20, 8
	s_addc_u32 s21, s21, 0
	v_or_b32_e32 v18, v4, v18
	s_cmp_lg_u32 s24, s22
	v_or_b32_e32 v19, v5, v19
	s_cbranch_scc1 .LBB5_143
	s_branch .LBB5_146
.LBB5_144:                              ;   in Loop: Header=BB5_117 Depth=2
                                        ; implicit-def: $vgpr18_vgpr19
                                        ; implicit-def: $sgpr25
	s_branch .LBB5_147
.LBB5_145:                              ;   in Loop: Header=BB5_117 Depth=2
	v_pk_mov_b32 v[18:19], 0, 0
.LBB5_146:                              ;   in Loop: Header=BB5_117 Depth=2
	s_mov_b32 s25, 0
	s_cbranch_execnz .LBB5_148
.LBB5_147:                              ;   in Loop: Header=BB5_117 Depth=2
	global_load_dwordx2 v[18:19], v35, s[0:1]
	s_add_i32 s25, s24, -8
	s_add_u32 s0, s0, 8
	s_addc_u32 s1, s1, 0
.LBB5_148:                              ;   in Loop: Header=BB5_117 Depth=2
	s_cmp_gt_u32 s25, 7
	s_cbranch_scc1 .LBB5_152
; %bb.149:                              ;   in Loop: Header=BB5_117 Depth=2
	s_cmp_eq_u32 s25, 0
	s_cbranch_scc1 .LBB5_153
; %bb.150:                              ;   in Loop: Header=BB5_117 Depth=2
	s_mov_b64 s[20:21], 0
	v_pk_mov_b32 v[20:21], 0, 0
	s_mov_b64 s[22:23], 0
.LBB5_151:                              ;   Parent Loop BB5_3 Depth=1
                                        ;     Parent Loop BB5_117 Depth=2
                                        ; =>    This Inner Loop Header: Depth=3
	s_add_u32 s26, s0, s22
	s_addc_u32 s27, s1, s23
	global_load_ubyte v1, v35, s[26:27]
	s_add_u32 s22, s22, 1
	s_addc_u32 s23, s23, 0
	s_waitcnt vmcnt(0)
	v_and_b32_e32 v34, 0xffff, v1
	v_lshlrev_b64 v[4:5], s20, v[34:35]
	s_add_u32 s20, s20, 8
	s_addc_u32 s21, s21, 0
	v_or_b32_e32 v20, v4, v20
	s_cmp_lg_u32 s25, s22
	v_or_b32_e32 v21, v5, v21
	s_cbranch_scc1 .LBB5_151
	s_branch .LBB5_154
.LBB5_152:                              ;   in Loop: Header=BB5_117 Depth=2
                                        ; implicit-def: $sgpr24
	s_branch .LBB5_155
.LBB5_153:                              ;   in Loop: Header=BB5_117 Depth=2
	v_pk_mov_b32 v[20:21], 0, 0
.LBB5_154:                              ;   in Loop: Header=BB5_117 Depth=2
	s_mov_b32 s24, 0
	s_cbranch_execnz .LBB5_156
.LBB5_155:                              ;   in Loop: Header=BB5_117 Depth=2
	global_load_dwordx2 v[20:21], v35, s[0:1]
	s_add_i32 s24, s25, -8
	s_add_u32 s0, s0, 8
	s_addc_u32 s1, s1, 0
.LBB5_156:                              ;   in Loop: Header=BB5_117 Depth=2
	s_cmp_gt_u32 s24, 7
	s_cbranch_scc1 .LBB5_160
; %bb.157:                              ;   in Loop: Header=BB5_117 Depth=2
	s_cmp_eq_u32 s24, 0
	s_cbranch_scc1 .LBB5_161
; %bb.158:                              ;   in Loop: Header=BB5_117 Depth=2
	s_mov_b64 s[20:21], 0
	v_pk_mov_b32 v[22:23], 0, 0
	s_mov_b64 s[22:23], 0
.LBB5_159:                              ;   Parent Loop BB5_3 Depth=1
                                        ;     Parent Loop BB5_117 Depth=2
                                        ; =>    This Inner Loop Header: Depth=3
	s_add_u32 s26, s0, s22
	s_addc_u32 s27, s1, s23
	global_load_ubyte v1, v35, s[26:27]
	s_add_u32 s22, s22, 1
	s_addc_u32 s23, s23, 0
	s_waitcnt vmcnt(0)
	v_and_b32_e32 v34, 0xffff, v1
	v_lshlrev_b64 v[4:5], s20, v[34:35]
	s_add_u32 s20, s20, 8
	s_addc_u32 s21, s21, 0
	v_or_b32_e32 v22, v4, v22
	s_cmp_lg_u32 s24, s22
	v_or_b32_e32 v23, v5, v23
	s_cbranch_scc1 .LBB5_159
	s_branch .LBB5_162
.LBB5_160:                              ;   in Loop: Header=BB5_117 Depth=2
                                        ; implicit-def: $vgpr22_vgpr23
                                        ; implicit-def: $sgpr25
	s_branch .LBB5_163
.LBB5_161:                              ;   in Loop: Header=BB5_117 Depth=2
	v_pk_mov_b32 v[22:23], 0, 0
.LBB5_162:                              ;   in Loop: Header=BB5_117 Depth=2
	s_mov_b32 s25, 0
	s_cbranch_execnz .LBB5_164
.LBB5_163:                              ;   in Loop: Header=BB5_117 Depth=2
	global_load_dwordx2 v[22:23], v35, s[0:1]
	s_add_i32 s25, s24, -8
	s_add_u32 s0, s0, 8
	s_addc_u32 s1, s1, 0
.LBB5_164:                              ;   in Loop: Header=BB5_117 Depth=2
	s_cmp_gt_u32 s25, 7
	s_cbranch_scc1 .LBB5_168
; %bb.165:                              ;   in Loop: Header=BB5_117 Depth=2
	s_cmp_eq_u32 s25, 0
	s_cbranch_scc1 .LBB5_169
; %bb.166:                              ;   in Loop: Header=BB5_117 Depth=2
	s_mov_b64 s[20:21], 0
	v_pk_mov_b32 v[24:25], 0, 0
	s_mov_b64 s[22:23], s[0:1]
.LBB5_167:                              ;   Parent Loop BB5_3 Depth=1
                                        ;     Parent Loop BB5_117 Depth=2
                                        ; =>    This Inner Loop Header: Depth=3
	global_load_ubyte v1, v35, s[22:23]
	s_add_i32 s25, s25, -1
	s_waitcnt vmcnt(0)
	v_and_b32_e32 v34, 0xffff, v1
	v_lshlrev_b64 v[4:5], s20, v[34:35]
	s_add_u32 s20, s20, 8
	s_addc_u32 s21, s21, 0
	s_add_u32 s22, s22, 1
	s_addc_u32 s23, s23, 0
	v_or_b32_e32 v24, v4, v24
	s_cmp_lg_u32 s25, 0
	v_or_b32_e32 v25, v5, v25
	s_cbranch_scc1 .LBB5_167
	s_branch .LBB5_170
.LBB5_168:                              ;   in Loop: Header=BB5_117 Depth=2
	s_branch .LBB5_171
.LBB5_169:                              ;   in Loop: Header=BB5_117 Depth=2
	v_pk_mov_b32 v[24:25], 0, 0
.LBB5_170:                              ;   in Loop: Header=BB5_117 Depth=2
	s_cbranch_execnz .LBB5_172
.LBB5_171:                              ;   in Loop: Header=BB5_117 Depth=2
	global_load_dwordx2 v[24:25], v35, s[0:1]
.LBB5_172:                              ;   in Loop: Header=BB5_117 Depth=2
	v_readfirstlane_b32 s0, v32
	v_cmp_eq_u32_e64 s[0:1], s0, v32
	v_pk_mov_b32 v[4:5], 0, 0
	s_and_saveexec_b64 s[20:21], s[0:1]
	s_cbranch_execz .LBB5_178
; %bb.173:                              ;   in Loop: Header=BB5_117 Depth=2
	global_load_dwordx2 v[28:29], v35, s[2:3] offset:24 glc
	s_waitcnt vmcnt(0)
	buffer_invl2
	buffer_wbinvl1_vol
	global_load_dwordx2 v[4:5], v35, s[2:3] offset:40
	global_load_dwordx2 v[26:27], v35, s[2:3]
	s_waitcnt vmcnt(1)
	v_and_b32_e32 v1, v4, v28
	v_and_b32_e32 v2, v5, v29
	v_mul_lo_u32 v2, v2, 24
	v_mul_hi_u32 v4, v1, 24
	v_mul_lo_u32 v1, v1, 24
	v_add_u32_e32 v2, v4, v2
	s_waitcnt vmcnt(0)
	v_add_co_u32_e32 v4, vcc, v26, v1
	v_addc_co_u32_e32 v5, vcc, v27, v2, vcc
	global_load_dwordx2 v[26:27], v[4:5], off glc
	s_waitcnt vmcnt(0)
	global_atomic_cmpswap_x2 v[4:5], v35, v[26:29], s[2:3] offset:24 glc
	s_waitcnt vmcnt(0)
	buffer_invl2
	buffer_wbinvl1_vol
	v_cmp_ne_u64_e32 vcc, v[4:5], v[28:29]
	s_and_saveexec_b64 s[22:23], vcc
	s_cbranch_execz .LBB5_177
; %bb.174:                              ;   in Loop: Header=BB5_117 Depth=2
	s_mov_b64 s[24:25], 0
.LBB5_175:                              ;   Parent Loop BB5_3 Depth=1
                                        ;     Parent Loop BB5_117 Depth=2
                                        ; =>    This Inner Loop Header: Depth=3
	s_sleep 1
	global_load_dwordx2 v[26:27], v35, s[2:3] offset:40
	global_load_dwordx2 v[38:39], v35, s[2:3]
	v_pk_mov_b32 v[28:29], v[4:5], v[4:5] op_sel:[0,1]
	s_waitcnt vmcnt(1)
	v_and_b32_e32 v2, v26, v28
	s_waitcnt vmcnt(0)
	v_mad_u64_u32 v[4:5], s[26:27], v2, 24, v[38:39]
	v_and_b32_e32 v1, v27, v29
	v_mov_b32_e32 v2, v5
	v_mad_u64_u32 v[26:27], s[26:27], v1, 24, v[2:3]
	v_mov_b32_e32 v5, v26
	global_load_dwordx2 v[26:27], v[4:5], off glc
	s_waitcnt vmcnt(0)
	global_atomic_cmpswap_x2 v[4:5], v35, v[26:29], s[2:3] offset:24 glc
	s_waitcnt vmcnt(0)
	buffer_invl2
	buffer_wbinvl1_vol
	v_cmp_eq_u64_e32 vcc, v[4:5], v[28:29]
	s_or_b64 s[24:25], vcc, s[24:25]
	s_andn2_b64 exec, exec, s[24:25]
	s_cbranch_execnz .LBB5_175
; %bb.176:                              ;   in Loop: Header=BB5_117 Depth=2
	s_or_b64 exec, exec, s[24:25]
.LBB5_177:                              ;   in Loop: Header=BB5_117 Depth=2
	s_or_b64 exec, exec, s[22:23]
.LBB5_178:                              ;   in Loop: Header=BB5_117 Depth=2
	s_or_b64 exec, exec, s[20:21]
	global_load_dwordx2 v[38:39], v35, s[2:3] offset:40
	global_load_dwordx4 v[26:29], v35, s[2:3]
	v_readfirstlane_b32 s20, v4
	v_readfirstlane_b32 s21, v5
	s_mov_b64 s[22:23], exec
	s_waitcnt vmcnt(1)
	v_readfirstlane_b32 s24, v38
	v_readfirstlane_b32 s25, v39
	s_and_b64 s[24:25], s[20:21], s[24:25]
	s_mul_i32 s26, s25, 24
	s_mul_hi_u32 s27, s24, 24
	s_mul_i32 s33, s24, 24
	s_add_i32 s26, s27, s26
	v_mov_b32_e32 v1, s26
	s_waitcnt vmcnt(0)
	v_add_co_u32_e32 v38, vcc, s33, v26
	v_addc_co_u32_e32 v39, vcc, v27, v1, vcc
	s_and_saveexec_b64 s[26:27], s[0:1]
	s_cbranch_execz .LBB5_180
; %bb.179:                              ;   in Loop: Header=BB5_117 Depth=2
	v_pk_mov_b32 v[4:5], s[22:23], s[22:23] op_sel:[0,1]
	global_store_dwordx4 v[38:39], v[4:7], off offset:8
.LBB5_180:                              ;   in Loop: Header=BB5_117 Depth=2
	s_or_b64 exec, exec, s[26:27]
	s_lshl_b64 s[22:23], s[24:25], 12
	v_mov_b32_e32 v1, s23
	v_add_co_u32_e32 v4, vcc, s22, v28
	v_addc_co_u32_e32 v1, vcc, v29, v1, vcc
	v_or_b32_e32 v2, 0, v11
	v_or_b32_e32 v5, v10, v36
	v_cmp_gt_u64_e64 vcc, s[16:17], 56
	s_lshl_b32 s22, s18, 2
	v_cndmask_b32_e32 v11, v2, v11, vcc
	v_cndmask_b32_e32 v2, v5, v10, vcc
	s_add_i32 s22, s22, 28
	s_and_b32 s22, s22, 0x1e0
	v_and_b32_e32 v2, 0xffffff1f, v2
	v_or_b32_e32 v10, s22, v2
	v_readfirstlane_b32 s22, v4
	v_readfirstlane_b32 s23, v1
	s_nop 4
	global_store_dwordx4 v49, v[10:13], s[22:23]
	global_store_dwordx4 v49, v[14:17], s[22:23] offset:16
	global_store_dwordx4 v49, v[18:21], s[22:23] offset:32
	;; [unrolled: 1-line block ×3, first 2 shown]
	s_and_saveexec_b64 s[22:23], s[0:1]
	s_cbranch_execz .LBB5_188
; %bb.181:                              ;   in Loop: Header=BB5_117 Depth=2
	global_load_dwordx2 v[18:19], v35, s[2:3] offset:32 glc
	global_load_dwordx2 v[10:11], v35, s[2:3] offset:40
	v_mov_b32_e32 v16, s20
	v_mov_b32_e32 v17, s21
	s_waitcnt vmcnt(0)
	v_readfirstlane_b32 s24, v10
	v_readfirstlane_b32 s25, v11
	s_and_b64 s[24:25], s[24:25], s[20:21]
	s_mul_i32 s25, s25, 24
	s_mul_hi_u32 s26, s24, 24
	s_mul_i32 s24, s24, 24
	s_add_i32 s25, s26, s25
	v_mov_b32_e32 v2, s25
	v_add_co_u32_e32 v14, vcc, s24, v26
	v_addc_co_u32_e32 v15, vcc, v27, v2, vcc
	global_store_dwordx2 v[14:15], v[18:19], off
	buffer_wbl2
	s_waitcnt vmcnt(0)
	global_atomic_cmpswap_x2 v[12:13], v35, v[16:19], s[2:3] offset:32 glc
	s_waitcnt vmcnt(0)
	v_cmp_ne_u64_e32 vcc, v[12:13], v[18:19]
	s_and_saveexec_b64 s[24:25], vcc
	s_cbranch_execz .LBB5_184
; %bb.182:                              ;   in Loop: Header=BB5_117 Depth=2
	s_mov_b64 s[26:27], 0
.LBB5_183:                              ;   Parent Loop BB5_3 Depth=1
                                        ;     Parent Loop BB5_117 Depth=2
                                        ; =>    This Inner Loop Header: Depth=3
	s_sleep 1
	global_store_dwordx2 v[14:15], v[12:13], off
	v_mov_b32_e32 v10, s20
	v_mov_b32_e32 v11, s21
	buffer_wbl2
	s_waitcnt vmcnt(0)
	global_atomic_cmpswap_x2 v[10:11], v35, v[10:13], s[2:3] offset:32 glc
	s_waitcnt vmcnt(0)
	v_cmp_eq_u64_e32 vcc, v[10:11], v[12:13]
	s_or_b64 s[26:27], vcc, s[26:27]
	v_pk_mov_b32 v[12:13], v[10:11], v[10:11] op_sel:[0,1]
	s_andn2_b64 exec, exec, s[26:27]
	s_cbranch_execnz .LBB5_183
.LBB5_184:                              ;   in Loop: Header=BB5_117 Depth=2
	s_or_b64 exec, exec, s[24:25]
	global_load_dwordx2 v[10:11], v35, s[2:3] offset:16
	s_mov_b64 s[26:27], exec
	v_mbcnt_lo_u32_b32 v2, s26, 0
	v_mbcnt_hi_u32_b32 v2, s27, v2
	v_cmp_eq_u32_e32 vcc, 0, v2
	s_and_saveexec_b64 s[24:25], vcc
	s_cbranch_execz .LBB5_186
; %bb.185:                              ;   in Loop: Header=BB5_117 Depth=2
	s_bcnt1_i32_b64 s26, s[26:27]
	v_mov_b32_e32 v2, s26
	buffer_wbl2
	s_waitcnt vmcnt(0)
	global_atomic_add_x2 v[10:11], v[2:3], off offset:8
.LBB5_186:                              ;   in Loop: Header=BB5_117 Depth=2
	s_or_b64 exec, exec, s[24:25]
	s_waitcnt vmcnt(0)
	global_load_dwordx2 v[12:13], v[10:11], off offset:16
	s_waitcnt vmcnt(0)
	v_cmp_eq_u64_e32 vcc, 0, v[12:13]
	s_cbranch_vccnz .LBB5_188
; %bb.187:                              ;   in Loop: Header=BB5_117 Depth=2
	global_load_dword v34, v[10:11], off offset:24
	s_waitcnt vmcnt(0)
	v_and_b32_e32 v2, 0xffffff, v34
	v_readfirstlane_b32 m0, v2
	buffer_wbl2
	global_store_dwordx2 v[12:13], v[34:35], off
	s_sendmsg sendmsg(MSG_INTERRUPT)
.LBB5_188:                              ;   in Loop: Header=BB5_117 Depth=2
	s_or_b64 exec, exec, s[22:23]
	v_add_co_u32_e32 v4, vcc, v4, v49
	v_addc_co_u32_e32 v5, vcc, 0, v1, vcc
	s_branch .LBB5_192
.LBB5_189:                              ;   in Loop: Header=BB5_192 Depth=3
	s_or_b64 exec, exec, s[22:23]
	v_readfirstlane_b32 s22, v1
	s_cmp_eq_u32 s22, 0
	s_cbranch_scc1 .LBB5_191
; %bb.190:                              ;   in Loop: Header=BB5_192 Depth=3
	s_sleep 1
	s_cbranch_execnz .LBB5_192
	s_branch .LBB5_194
.LBB5_191:                              ;   in Loop: Header=BB5_117 Depth=2
	s_branch .LBB5_194
.LBB5_192:                              ;   Parent Loop BB5_3 Depth=1
                                        ;     Parent Loop BB5_117 Depth=2
                                        ; =>    This Inner Loop Header: Depth=3
	v_mov_b32_e32 v1, 1
	s_and_saveexec_b64 s[22:23], s[0:1]
	s_cbranch_execz .LBB5_189
; %bb.193:                              ;   in Loop: Header=BB5_192 Depth=3
	global_load_dword v1, v[38:39], off offset:20 glc
	s_waitcnt vmcnt(0)
	buffer_invl2
	buffer_wbinvl1_vol
	v_and_b32_e32 v1, 1, v1
	s_branch .LBB5_189
.LBB5_194:                              ;   in Loop: Header=BB5_117 Depth=2
	global_load_dwordx4 v[10:13], v[4:5], off
	s_and_saveexec_b64 s[22:23], s[0:1]
	s_cbranch_execz .LBB5_116
; %bb.195:                              ;   in Loop: Header=BB5_117 Depth=2
	global_load_dwordx2 v[4:5], v35, s[2:3] offset:40
	global_load_dwordx2 v[16:17], v35, s[2:3] offset:24 glc
	global_load_dwordx2 v[18:19], v35, s[2:3]
	v_mov_b32_e32 v1, s21
	s_waitcnt vmcnt(2)
	v_add_co_u32_e32 v2, vcc, 1, v4
	v_addc_co_u32_e32 v15, vcc, 0, v5, vcc
	v_add_co_u32_e32 v12, vcc, s20, v2
	v_addc_co_u32_e32 v13, vcc, v15, v1, vcc
	v_cmp_eq_u64_e32 vcc, 0, v[12:13]
	v_cndmask_b32_e32 v13, v13, v15, vcc
	v_cndmask_b32_e32 v12, v12, v2, vcc
	v_and_b32_e32 v1, v13, v5
	v_and_b32_e32 v2, v12, v4
	v_mul_lo_u32 v1, v1, 24
	v_mul_hi_u32 v4, v2, 24
	v_mul_lo_u32 v2, v2, 24
	v_add_u32_e32 v1, v4, v1
	s_waitcnt vmcnt(0)
	v_add_co_u32_e32 v4, vcc, v18, v2
	v_addc_co_u32_e32 v5, vcc, v19, v1, vcc
	v_mov_b32_e32 v14, v16
	global_store_dwordx2 v[4:5], v[16:17], off
	v_mov_b32_e32 v15, v17
	buffer_wbl2
	s_waitcnt vmcnt(0)
	global_atomic_cmpswap_x2 v[14:15], v35, v[12:15], s[2:3] offset:24 glc
	s_waitcnt vmcnt(0)
	v_cmp_ne_u64_e32 vcc, v[14:15], v[16:17]
	s_and_b64 exec, exec, vcc
	s_cbranch_execz .LBB5_116
; %bb.196:                              ;   in Loop: Header=BB5_117 Depth=2
	s_mov_b64 s[0:1], 0
.LBB5_197:                              ;   Parent Loop BB5_3 Depth=1
                                        ;     Parent Loop BB5_117 Depth=2
                                        ; =>    This Inner Loop Header: Depth=3
	s_sleep 1
	global_store_dwordx2 v[4:5], v[14:15], off
	buffer_wbl2
	s_waitcnt vmcnt(0)
	global_atomic_cmpswap_x2 v[16:17], v35, v[12:15], s[2:3] offset:24 glc
	s_waitcnt vmcnt(0)
	v_cmp_eq_u64_e32 vcc, v[16:17], v[14:15]
	s_or_b64 s[0:1], vcc, s[0:1]
	v_pk_mov_b32 v[14:15], v[16:17], v[16:17] op_sel:[0,1]
	s_andn2_b64 exec, exec, s[0:1]
	s_cbranch_execnz .LBB5_197
	s_branch .LBB5_116
.LBB5_198:                              ;   in Loop: Header=BB5_3 Depth=1
	s_branch .LBB5_255
.LBB5_199:                              ;   in Loop: Header=BB5_3 Depth=1
                                        ; implicit-def: $vgpr8_vgpr9
	s_cbranch_execz .LBB5_114
; %bb.200:                              ;   in Loop: Header=BB5_3 Depth=1
	v_readfirstlane_b32 s0, v32
	v_cmp_eq_u32_e64 s[0:1], s0, v32
	v_pk_mov_b32 v[4:5], 0, 0
	s_and_saveexec_b64 s[14:15], s[0:1]
	s_cbranch_execz .LBB5_206
; %bb.201:                              ;   in Loop: Header=BB5_3 Depth=1
	global_load_dwordx2 v[10:11], v35, s[2:3] offset:24 glc
	s_waitcnt vmcnt(0)
	buffer_invl2
	buffer_wbinvl1_vol
	global_load_dwordx2 v[4:5], v35, s[2:3] offset:40
	global_load_dwordx2 v[8:9], v35, s[2:3]
	s_waitcnt vmcnt(1)
	v_and_b32_e32 v1, v4, v10
	v_and_b32_e32 v2, v5, v11
	v_mul_lo_u32 v2, v2, 24
	v_mul_hi_u32 v4, v1, 24
	v_mul_lo_u32 v1, v1, 24
	v_add_u32_e32 v2, v4, v2
	s_waitcnt vmcnt(0)
	v_add_co_u32_e32 v4, vcc, v8, v1
	v_addc_co_u32_e32 v5, vcc, v9, v2, vcc
	global_load_dwordx2 v[8:9], v[4:5], off glc
	s_waitcnt vmcnt(0)
	global_atomic_cmpswap_x2 v[4:5], v35, v[8:11], s[2:3] offset:24 glc
	s_waitcnt vmcnt(0)
	buffer_invl2
	buffer_wbinvl1_vol
	v_cmp_ne_u64_e32 vcc, v[4:5], v[10:11]
	s_and_saveexec_b64 s[16:17], vcc
	s_cbranch_execz .LBB5_205
; %bb.202:                              ;   in Loop: Header=BB5_3 Depth=1
	s_mov_b64 s[18:19], 0
.LBB5_203:                              ;   Parent Loop BB5_3 Depth=1
                                        ; =>  This Inner Loop Header: Depth=2
	s_sleep 1
	global_load_dwordx2 v[8:9], v35, s[2:3] offset:40
	global_load_dwordx2 v[14:15], v35, s[2:3]
	v_pk_mov_b32 v[10:11], v[4:5], v[4:5] op_sel:[0,1]
	s_waitcnt vmcnt(1)
	v_and_b32_e32 v2, v8, v10
	s_waitcnt vmcnt(0)
	v_mad_u64_u32 v[4:5], s[20:21], v2, 24, v[14:15]
	v_and_b32_e32 v1, v9, v11
	v_mov_b32_e32 v2, v5
	v_mad_u64_u32 v[8:9], s[20:21], v1, 24, v[2:3]
	v_mov_b32_e32 v5, v8
	global_load_dwordx2 v[8:9], v[4:5], off glc
	s_waitcnt vmcnt(0)
	global_atomic_cmpswap_x2 v[4:5], v35, v[8:11], s[2:3] offset:24 glc
	s_waitcnt vmcnt(0)
	buffer_invl2
	buffer_wbinvl1_vol
	v_cmp_eq_u64_e32 vcc, v[4:5], v[10:11]
	s_or_b64 s[18:19], vcc, s[18:19]
	s_andn2_b64 exec, exec, s[18:19]
	s_cbranch_execnz .LBB5_203
; %bb.204:                              ;   in Loop: Header=BB5_3 Depth=1
	s_or_b64 exec, exec, s[18:19]
.LBB5_205:                              ;   in Loop: Header=BB5_3 Depth=1
	s_or_b64 exec, exec, s[16:17]
.LBB5_206:                              ;   in Loop: Header=BB5_3 Depth=1
	s_or_b64 exec, exec, s[14:15]
	global_load_dwordx2 v[14:15], v35, s[2:3] offset:40
	global_load_dwordx4 v[8:11], v35, s[2:3]
	v_readfirstlane_b32 s14, v4
	v_readfirstlane_b32 s15, v5
	s_mov_b64 s[16:17], exec
	s_waitcnt vmcnt(1)
	v_readfirstlane_b32 s18, v14
	v_readfirstlane_b32 s19, v15
	s_and_b64 s[18:19], s[14:15], s[18:19]
	s_mul_i32 s20, s19, 24
	s_mul_hi_u32 s21, s18, 24
	s_mul_i32 s22, s18, 24
	s_add_i32 s20, s21, s20
	v_mov_b32_e32 v1, s20
	s_waitcnt vmcnt(0)
	v_add_co_u32_e32 v16, vcc, s22, v8
	v_addc_co_u32_e32 v17, vcc, v9, v1, vcc
	s_and_saveexec_b64 s[20:21], s[0:1]
	s_cbranch_execz .LBB5_208
; %bb.207:                              ;   in Loop: Header=BB5_3 Depth=1
	v_pk_mov_b32 v[4:5], s[16:17], s[16:17] op_sel:[0,1]
	global_store_dwordx4 v[16:17], v[4:7], off offset:8
.LBB5_208:                              ;   in Loop: Header=BB5_3 Depth=1
	s_or_b64 exec, exec, s[20:21]
	s_lshl_b64 s[16:17], s[18:19], 12
	v_mov_b32_e32 v1, s17
	v_add_co_u32_e32 v4, vcc, s16, v10
	v_addc_co_u32_e32 v1, vcc, v11, v1, vcc
	v_and_or_b32 v12, v12, s29, 32
	v_mov_b32_e32 v14, v3
	v_mov_b32_e32 v15, v3
	v_readfirstlane_b32 s16, v4
	v_readfirstlane_b32 s17, v1
	s_nop 4
	global_store_dwordx4 v49, v[12:15], s[16:17]
	s_nop 0
	v_pk_mov_b32 v[12:13], s[10:11], s[10:11] op_sel:[0,1]
	v_pk_mov_b32 v[10:11], s[8:9], s[8:9] op_sel:[0,1]
	global_store_dwordx4 v49, v[10:13], s[16:17] offset:16
	global_store_dwordx4 v49, v[10:13], s[16:17] offset:32
	;; [unrolled: 1-line block ×3, first 2 shown]
	s_and_saveexec_b64 s[16:17], s[0:1]
	s_cbranch_execz .LBB5_216
; %bb.209:                              ;   in Loop: Header=BB5_3 Depth=1
	global_load_dwordx2 v[20:21], v35, s[2:3] offset:32 glc
	global_load_dwordx2 v[10:11], v35, s[2:3] offset:40
	v_mov_b32_e32 v18, s14
	v_mov_b32_e32 v19, s15
	s_waitcnt vmcnt(0)
	v_readfirstlane_b32 s18, v10
	v_readfirstlane_b32 s19, v11
	s_and_b64 s[18:19], s[18:19], s[14:15]
	s_mul_i32 s19, s19, 24
	s_mul_hi_u32 s20, s18, 24
	s_mul_i32 s18, s18, 24
	s_add_i32 s19, s20, s19
	v_mov_b32_e32 v2, s19
	v_add_co_u32_e32 v12, vcc, s18, v8
	v_addc_co_u32_e32 v13, vcc, v9, v2, vcc
	global_store_dwordx2 v[12:13], v[20:21], off
	buffer_wbl2
	s_waitcnt vmcnt(0)
	global_atomic_cmpswap_x2 v[10:11], v35, v[18:21], s[2:3] offset:32 glc
	s_waitcnt vmcnt(0)
	v_cmp_ne_u64_e32 vcc, v[10:11], v[20:21]
	s_and_saveexec_b64 s[18:19], vcc
	s_cbranch_execz .LBB5_212
; %bb.210:                              ;   in Loop: Header=BB5_3 Depth=1
	s_mov_b64 s[20:21], 0
.LBB5_211:                              ;   Parent Loop BB5_3 Depth=1
                                        ; =>  This Inner Loop Header: Depth=2
	s_sleep 1
	global_store_dwordx2 v[12:13], v[10:11], off
	v_mov_b32_e32 v8, s14
	v_mov_b32_e32 v9, s15
	buffer_wbl2
	s_waitcnt vmcnt(0)
	global_atomic_cmpswap_x2 v[8:9], v35, v[8:11], s[2:3] offset:32 glc
	s_waitcnt vmcnt(0)
	v_cmp_eq_u64_e32 vcc, v[8:9], v[10:11]
	s_or_b64 s[20:21], vcc, s[20:21]
	v_pk_mov_b32 v[10:11], v[8:9], v[8:9] op_sel:[0,1]
	s_andn2_b64 exec, exec, s[20:21]
	s_cbranch_execnz .LBB5_211
.LBB5_212:                              ;   in Loop: Header=BB5_3 Depth=1
	s_or_b64 exec, exec, s[18:19]
	global_load_dwordx2 v[8:9], v35, s[2:3] offset:16
	s_mov_b64 s[20:21], exec
	v_mbcnt_lo_u32_b32 v2, s20, 0
	v_mbcnt_hi_u32_b32 v2, s21, v2
	v_cmp_eq_u32_e32 vcc, 0, v2
	s_and_saveexec_b64 s[18:19], vcc
	s_cbranch_execz .LBB5_214
; %bb.213:                              ;   in Loop: Header=BB5_3 Depth=1
	s_bcnt1_i32_b64 s20, s[20:21]
	v_mov_b32_e32 v2, s20
	buffer_wbl2
	s_waitcnt vmcnt(0)
	global_atomic_add_x2 v[8:9], v[2:3], off offset:8
.LBB5_214:                              ;   in Loop: Header=BB5_3 Depth=1
	s_or_b64 exec, exec, s[18:19]
	s_waitcnt vmcnt(0)
	global_load_dwordx2 v[10:11], v[8:9], off offset:16
	s_waitcnt vmcnt(0)
	v_cmp_eq_u64_e32 vcc, 0, v[10:11]
	s_cbranch_vccnz .LBB5_216
; %bb.215:                              ;   in Loop: Header=BB5_3 Depth=1
	global_load_dword v34, v[8:9], off offset:24
	s_waitcnt vmcnt(0)
	v_and_b32_e32 v2, 0xffffff, v34
	v_readfirstlane_b32 m0, v2
	buffer_wbl2
	global_store_dwordx2 v[10:11], v[34:35], off
	s_sendmsg sendmsg(MSG_INTERRUPT)
.LBB5_216:                              ;   in Loop: Header=BB5_3 Depth=1
	s_or_b64 exec, exec, s[16:17]
	v_add_co_u32_e32 v4, vcc, v4, v49
	v_addc_co_u32_e32 v5, vcc, 0, v1, vcc
	s_branch .LBB5_220
.LBB5_217:                              ;   in Loop: Header=BB5_220 Depth=2
	s_or_b64 exec, exec, s[16:17]
	v_readfirstlane_b32 s16, v1
	s_cmp_eq_u32 s16, 0
	s_cbranch_scc1 .LBB5_219
; %bb.218:                              ;   in Loop: Header=BB5_220 Depth=2
	s_sleep 1
	s_cbranch_execnz .LBB5_220
	s_branch .LBB5_222
.LBB5_219:                              ;   in Loop: Header=BB5_3 Depth=1
	s_branch .LBB5_222
.LBB5_220:                              ;   Parent Loop BB5_3 Depth=1
                                        ; =>  This Inner Loop Header: Depth=2
	v_mov_b32_e32 v1, 1
	s_and_saveexec_b64 s[16:17], s[0:1]
	s_cbranch_execz .LBB5_217
; %bb.221:                              ;   in Loop: Header=BB5_220 Depth=2
	global_load_dword v1, v[16:17], off offset:20 glc
	s_waitcnt vmcnt(0)
	buffer_invl2
	buffer_wbinvl1_vol
	v_and_b32_e32 v1, 1, v1
	s_branch .LBB5_217
.LBB5_222:                              ;   in Loop: Header=BB5_3 Depth=1
	global_load_dwordx2 v[8:9], v[4:5], off
	s_and_saveexec_b64 s[16:17], s[0:1]
	s_cbranch_execz .LBB5_226
; %bb.223:                              ;   in Loop: Header=BB5_3 Depth=1
	global_load_dwordx2 v[4:5], v35, s[2:3] offset:40
	global_load_dwordx2 v[14:15], v35, s[2:3] offset:24 glc
	global_load_dwordx2 v[16:17], v35, s[2:3]
	v_mov_b32_e32 v1, s15
	s_waitcnt vmcnt(2)
	v_add_co_u32_e32 v2, vcc, 1, v4
	v_addc_co_u32_e32 v13, vcc, 0, v5, vcc
	v_add_co_u32_e32 v10, vcc, s14, v2
	v_addc_co_u32_e32 v11, vcc, v13, v1, vcc
	v_cmp_eq_u64_e32 vcc, 0, v[10:11]
	v_cndmask_b32_e32 v11, v11, v13, vcc
	v_cndmask_b32_e32 v10, v10, v2, vcc
	v_and_b32_e32 v1, v11, v5
	v_and_b32_e32 v2, v10, v4
	v_mul_lo_u32 v1, v1, 24
	v_mul_hi_u32 v4, v2, 24
	v_mul_lo_u32 v2, v2, 24
	v_add_u32_e32 v1, v4, v1
	s_waitcnt vmcnt(0)
	v_add_co_u32_e32 v4, vcc, v16, v2
	v_addc_co_u32_e32 v5, vcc, v17, v1, vcc
	v_mov_b32_e32 v12, v14
	global_store_dwordx2 v[4:5], v[14:15], off
	v_mov_b32_e32 v13, v15
	buffer_wbl2
	s_waitcnt vmcnt(0)
	global_atomic_cmpswap_x2 v[12:13], v35, v[10:13], s[2:3] offset:24 glc
	s_waitcnt vmcnt(0)
	v_cmp_ne_u64_e32 vcc, v[12:13], v[14:15]
	s_and_b64 exec, exec, vcc
	s_cbranch_execz .LBB5_226
; %bb.224:                              ;   in Loop: Header=BB5_3 Depth=1
	s_mov_b64 s[0:1], 0
.LBB5_225:                              ;   Parent Loop BB5_3 Depth=1
                                        ; =>  This Inner Loop Header: Depth=2
	s_sleep 1
	global_store_dwordx2 v[4:5], v[12:13], off
	buffer_wbl2
	s_waitcnt vmcnt(0)
	global_atomic_cmpswap_x2 v[14:15], v35, v[10:13], s[2:3] offset:24 glc
	s_waitcnt vmcnt(0)
	v_cmp_eq_u64_e32 vcc, v[14:15], v[12:13]
	s_or_b64 s[0:1], vcc, s[0:1]
	v_pk_mov_b32 v[12:13], v[14:15], v[14:15] op_sel:[0,1]
	s_andn2_b64 exec, exec, s[0:1]
	s_cbranch_execnz .LBB5_225
.LBB5_226:                              ;   in Loop: Header=BB5_3 Depth=1
	s_or_b64 exec, exec, s[16:17]
	s_and_b64 vcc, exec, s[12:13]
	s_cbranch_vccnz .LBB5_115
.LBB5_227:                              ;   in Loop: Header=BB5_3 Depth=1
                                        ; implicit-def: $vgpr10_vgpr11
	s_cbranch_execz .LBB5_255
; %bb.228:                              ;   in Loop: Header=BB5_3 Depth=1
	v_readfirstlane_b32 s0, v32
	v_cmp_eq_u32_e64 s[0:1], s0, v32
	v_pk_mov_b32 v[4:5], 0, 0
	s_and_saveexec_b64 s[14:15], s[0:1]
	s_cbranch_execz .LBB5_234
; %bb.229:                              ;   in Loop: Header=BB5_3 Depth=1
	global_load_dwordx2 v[12:13], v35, s[2:3] offset:24 glc
	s_waitcnt vmcnt(0)
	buffer_invl2
	buffer_wbinvl1_vol
	global_load_dwordx2 v[4:5], v35, s[2:3] offset:40
	global_load_dwordx2 v[10:11], v35, s[2:3]
	s_waitcnt vmcnt(1)
	v_and_b32_e32 v1, v4, v12
	v_and_b32_e32 v2, v5, v13
	v_mul_lo_u32 v2, v2, 24
	v_mul_hi_u32 v4, v1, 24
	v_mul_lo_u32 v1, v1, 24
	v_add_u32_e32 v2, v4, v2
	s_waitcnt vmcnt(0)
	v_add_co_u32_e32 v4, vcc, v10, v1
	v_addc_co_u32_e32 v5, vcc, v11, v2, vcc
	global_load_dwordx2 v[10:11], v[4:5], off glc
	s_waitcnt vmcnt(0)
	global_atomic_cmpswap_x2 v[4:5], v35, v[10:13], s[2:3] offset:24 glc
	s_waitcnt vmcnt(0)
	buffer_invl2
	buffer_wbinvl1_vol
	v_cmp_ne_u64_e32 vcc, v[4:5], v[12:13]
	s_and_saveexec_b64 s[16:17], vcc
	s_cbranch_execz .LBB5_233
; %bb.230:                              ;   in Loop: Header=BB5_3 Depth=1
	s_mov_b64 s[18:19], 0
.LBB5_231:                              ;   Parent Loop BB5_3 Depth=1
                                        ; =>  This Inner Loop Header: Depth=2
	s_sleep 1
	global_load_dwordx2 v[10:11], v35, s[2:3] offset:40
	global_load_dwordx2 v[14:15], v35, s[2:3]
	v_pk_mov_b32 v[12:13], v[4:5], v[4:5] op_sel:[0,1]
	s_waitcnt vmcnt(1)
	v_and_b32_e32 v2, v10, v12
	s_waitcnt vmcnt(0)
	v_mad_u64_u32 v[4:5], s[20:21], v2, 24, v[14:15]
	v_and_b32_e32 v1, v11, v13
	v_mov_b32_e32 v2, v5
	v_mad_u64_u32 v[10:11], s[20:21], v1, 24, v[2:3]
	v_mov_b32_e32 v5, v10
	global_load_dwordx2 v[10:11], v[4:5], off glc
	s_waitcnt vmcnt(0)
	global_atomic_cmpswap_x2 v[4:5], v35, v[10:13], s[2:3] offset:24 glc
	s_waitcnt vmcnt(0)
	buffer_invl2
	buffer_wbinvl1_vol
	v_cmp_eq_u64_e32 vcc, v[4:5], v[12:13]
	s_or_b64 s[18:19], vcc, s[18:19]
	s_andn2_b64 exec, exec, s[18:19]
	s_cbranch_execnz .LBB5_231
; %bb.232:                              ;   in Loop: Header=BB5_3 Depth=1
	s_or_b64 exec, exec, s[18:19]
.LBB5_233:                              ;   in Loop: Header=BB5_3 Depth=1
	s_or_b64 exec, exec, s[16:17]
.LBB5_234:                              ;   in Loop: Header=BB5_3 Depth=1
	s_or_b64 exec, exec, s[14:15]
	global_load_dwordx2 v[10:11], v35, s[2:3] offset:40
	global_load_dwordx4 v[12:15], v35, s[2:3]
	v_readfirstlane_b32 s14, v4
	v_readfirstlane_b32 s15, v5
	s_mov_b64 s[16:17], exec
	s_waitcnt vmcnt(1)
	v_readfirstlane_b32 s18, v10
	v_readfirstlane_b32 s19, v11
	s_and_b64 s[18:19], s[14:15], s[18:19]
	s_mul_i32 s20, s19, 24
	s_mul_hi_u32 s21, s18, 24
	s_mul_i32 s22, s18, 24
	s_add_i32 s20, s21, s20
	v_mov_b32_e32 v1, s20
	s_waitcnt vmcnt(0)
	v_add_co_u32_e32 v16, vcc, s22, v12
	v_addc_co_u32_e32 v17, vcc, v13, v1, vcc
	s_and_saveexec_b64 s[20:21], s[0:1]
	s_cbranch_execz .LBB5_236
; %bb.235:                              ;   in Loop: Header=BB5_3 Depth=1
	v_pk_mov_b32 v[4:5], s[16:17], s[16:17] op_sel:[0,1]
	global_store_dwordx4 v[16:17], v[4:7], off offset:8
.LBB5_236:                              ;   in Loop: Header=BB5_3 Depth=1
	s_or_b64 exec, exec, s[20:21]
	s_lshl_b64 s[16:17], s[18:19], 12
	v_mov_b32_e32 v1, s17
	v_add_co_u32_e32 v4, vcc, s16, v14
	v_addc_co_u32_e32 v1, vcc, v15, v1, vcc
	v_and_or_b32 v8, v8, s29, 32
	v_mov_b32_e32 v10, v3
	v_mov_b32_e32 v11, v3
	v_readfirstlane_b32 s16, v4
	v_readfirstlane_b32 s17, v1
	s_nop 4
	global_store_dwordx4 v49, v[8:11], s[16:17]
	s_nop 0
	v_pk_mov_b32 v[8:9], s[8:9], s[8:9] op_sel:[0,1]
	v_pk_mov_b32 v[10:11], s[10:11], s[10:11] op_sel:[0,1]
	global_store_dwordx4 v49, v[8:11], s[16:17] offset:16
	global_store_dwordx4 v49, v[8:11], s[16:17] offset:32
	;; [unrolled: 1-line block ×3, first 2 shown]
	s_and_saveexec_b64 s[16:17], s[0:1]
	s_cbranch_execz .LBB5_244
; %bb.237:                              ;   in Loop: Header=BB5_3 Depth=1
	global_load_dwordx2 v[20:21], v35, s[2:3] offset:32 glc
	global_load_dwordx2 v[8:9], v35, s[2:3] offset:40
	v_mov_b32_e32 v18, s14
	v_mov_b32_e32 v19, s15
	s_waitcnt vmcnt(0)
	v_readfirstlane_b32 s18, v8
	v_readfirstlane_b32 s19, v9
	s_and_b64 s[18:19], s[18:19], s[14:15]
	s_mul_i32 s19, s19, 24
	s_mul_hi_u32 s20, s18, 24
	s_mul_i32 s18, s18, 24
	s_add_i32 s19, s20, s19
	v_mov_b32_e32 v2, s19
	v_add_co_u32_e32 v12, vcc, s18, v12
	v_addc_co_u32_e32 v13, vcc, v13, v2, vcc
	global_store_dwordx2 v[12:13], v[20:21], off
	buffer_wbl2
	s_waitcnt vmcnt(0)
	global_atomic_cmpswap_x2 v[10:11], v35, v[18:21], s[2:3] offset:32 glc
	s_waitcnt vmcnt(0)
	v_cmp_ne_u64_e32 vcc, v[10:11], v[20:21]
	s_and_saveexec_b64 s[18:19], vcc
	s_cbranch_execz .LBB5_240
; %bb.238:                              ;   in Loop: Header=BB5_3 Depth=1
	s_mov_b64 s[20:21], 0
.LBB5_239:                              ;   Parent Loop BB5_3 Depth=1
                                        ; =>  This Inner Loop Header: Depth=2
	s_sleep 1
	global_store_dwordx2 v[12:13], v[10:11], off
	v_mov_b32_e32 v8, s14
	v_mov_b32_e32 v9, s15
	buffer_wbl2
	s_waitcnt vmcnt(0)
	global_atomic_cmpswap_x2 v[8:9], v35, v[8:11], s[2:3] offset:32 glc
	s_waitcnt vmcnt(0)
	v_cmp_eq_u64_e32 vcc, v[8:9], v[10:11]
	s_or_b64 s[20:21], vcc, s[20:21]
	v_pk_mov_b32 v[10:11], v[8:9], v[8:9] op_sel:[0,1]
	s_andn2_b64 exec, exec, s[20:21]
	s_cbranch_execnz .LBB5_239
.LBB5_240:                              ;   in Loop: Header=BB5_3 Depth=1
	s_or_b64 exec, exec, s[18:19]
	global_load_dwordx2 v[8:9], v35, s[2:3] offset:16
	s_mov_b64 s[20:21], exec
	v_mbcnt_lo_u32_b32 v2, s20, 0
	v_mbcnt_hi_u32_b32 v2, s21, v2
	v_cmp_eq_u32_e32 vcc, 0, v2
	s_and_saveexec_b64 s[18:19], vcc
	s_cbranch_execz .LBB5_242
; %bb.241:                              ;   in Loop: Header=BB5_3 Depth=1
	s_bcnt1_i32_b64 s20, s[20:21]
	v_mov_b32_e32 v2, s20
	buffer_wbl2
	s_waitcnt vmcnt(0)
	global_atomic_add_x2 v[8:9], v[2:3], off offset:8
.LBB5_242:                              ;   in Loop: Header=BB5_3 Depth=1
	s_or_b64 exec, exec, s[18:19]
	s_waitcnt vmcnt(0)
	global_load_dwordx2 v[10:11], v[8:9], off offset:16
	s_waitcnt vmcnt(0)
	v_cmp_eq_u64_e32 vcc, 0, v[10:11]
	s_cbranch_vccnz .LBB5_244
; %bb.243:                              ;   in Loop: Header=BB5_3 Depth=1
	global_load_dword v34, v[8:9], off offset:24
	s_waitcnt vmcnt(0)
	v_and_b32_e32 v2, 0xffffff, v34
	v_readfirstlane_b32 m0, v2
	buffer_wbl2
	global_store_dwordx2 v[10:11], v[34:35], off
	s_sendmsg sendmsg(MSG_INTERRUPT)
.LBB5_244:                              ;   in Loop: Header=BB5_3 Depth=1
	s_or_b64 exec, exec, s[16:17]
	v_add_co_u32_e32 v4, vcc, v4, v49
	v_addc_co_u32_e32 v5, vcc, 0, v1, vcc
	s_branch .LBB5_248
.LBB5_245:                              ;   in Loop: Header=BB5_248 Depth=2
	s_or_b64 exec, exec, s[16:17]
	v_readfirstlane_b32 s16, v1
	s_cmp_eq_u32 s16, 0
	s_cbranch_scc1 .LBB5_247
; %bb.246:                              ;   in Loop: Header=BB5_248 Depth=2
	s_sleep 1
	s_cbranch_execnz .LBB5_248
	s_branch .LBB5_250
.LBB5_247:                              ;   in Loop: Header=BB5_3 Depth=1
	s_branch .LBB5_250
.LBB5_248:                              ;   Parent Loop BB5_3 Depth=1
                                        ; =>  This Inner Loop Header: Depth=2
	v_mov_b32_e32 v1, 1
	s_and_saveexec_b64 s[16:17], s[0:1]
	s_cbranch_execz .LBB5_245
; %bb.249:                              ;   in Loop: Header=BB5_248 Depth=2
	global_load_dword v1, v[16:17], off offset:20 glc
	s_waitcnt vmcnt(0)
	buffer_invl2
	buffer_wbinvl1_vol
	v_and_b32_e32 v1, 1, v1
	s_branch .LBB5_245
.LBB5_250:                              ;   in Loop: Header=BB5_3 Depth=1
	global_load_dwordx2 v[10:11], v[4:5], off
	s_and_saveexec_b64 s[16:17], s[0:1]
	s_cbranch_execz .LBB5_254
; %bb.251:                              ;   in Loop: Header=BB5_3 Depth=1
	global_load_dwordx2 v[4:5], v35, s[2:3] offset:40
	global_load_dwordx2 v[8:9], v35, s[2:3] offset:24 glc
	global_load_dwordx2 v[16:17], v35, s[2:3]
	v_mov_b32_e32 v1, s15
	s_waitcnt vmcnt(2)
	v_add_co_u32_e32 v2, vcc, 1, v4
	v_addc_co_u32_e32 v15, vcc, 0, v5, vcc
	v_add_co_u32_e32 v12, vcc, s14, v2
	v_addc_co_u32_e32 v13, vcc, v15, v1, vcc
	v_cmp_eq_u64_e32 vcc, 0, v[12:13]
	v_cndmask_b32_e32 v13, v13, v15, vcc
	v_cndmask_b32_e32 v12, v12, v2, vcc
	v_and_b32_e32 v1, v13, v5
	v_and_b32_e32 v2, v12, v4
	v_mul_lo_u32 v1, v1, 24
	v_mul_hi_u32 v4, v2, 24
	v_mul_lo_u32 v2, v2, 24
	v_add_u32_e32 v1, v4, v1
	s_waitcnt vmcnt(0)
	v_add_co_u32_e32 v4, vcc, v16, v2
	v_addc_co_u32_e32 v5, vcc, v17, v1, vcc
	v_mov_b32_e32 v14, v8
	global_store_dwordx2 v[4:5], v[8:9], off
	v_mov_b32_e32 v15, v9
	buffer_wbl2
	s_waitcnt vmcnt(0)
	global_atomic_cmpswap_x2 v[14:15], v35, v[12:15], s[2:3] offset:24 glc
	s_waitcnt vmcnt(0)
	v_cmp_ne_u64_e32 vcc, v[14:15], v[8:9]
	s_and_b64 exec, exec, vcc
	s_cbranch_execz .LBB5_254
; %bb.252:                              ;   in Loop: Header=BB5_3 Depth=1
	s_mov_b64 s[0:1], 0
.LBB5_253:                              ;   Parent Loop BB5_3 Depth=1
                                        ; =>  This Inner Loop Header: Depth=2
	s_sleep 1
	global_store_dwordx2 v[4:5], v[14:15], off
	buffer_wbl2
	s_waitcnt vmcnt(0)
	global_atomic_cmpswap_x2 v[8:9], v35, v[12:15], s[2:3] offset:24 glc
	s_waitcnt vmcnt(0)
	v_cmp_eq_u64_e32 vcc, v[8:9], v[14:15]
	s_or_b64 s[0:1], vcc, s[0:1]
	v_pk_mov_b32 v[14:15], v[8:9], v[8:9] op_sel:[0,1]
	s_andn2_b64 exec, exec, s[0:1]
	s_cbranch_execnz .LBB5_253
.LBB5_254:                              ;   in Loop: Header=BB5_3 Depth=1
	s_or_b64 exec, exec, s[16:17]
.LBB5_255:                              ;   in Loop: Header=BB5_3 Depth=1
	v_readfirstlane_b32 s0, v32
	v_cmp_eq_u32_e64 s[0:1], s0, v32
	v_pk_mov_b32 v[4:5], 0, 0
	s_and_saveexec_b64 s[14:15], s[0:1]
	s_cbranch_execz .LBB5_261
; %bb.256:                              ;   in Loop: Header=BB5_3 Depth=1
	global_load_dwordx2 v[14:15], v35, s[2:3] offset:24 glc
	s_waitcnt vmcnt(0)
	buffer_invl2
	buffer_wbinvl1_vol
	global_load_dwordx2 v[4:5], v35, s[2:3] offset:40
	global_load_dwordx2 v[8:9], v35, s[2:3]
	s_waitcnt vmcnt(1)
	v_and_b32_e32 v1, v4, v14
	v_and_b32_e32 v2, v5, v15
	v_mul_lo_u32 v2, v2, 24
	v_mul_hi_u32 v4, v1, 24
	v_mul_lo_u32 v1, v1, 24
	v_add_u32_e32 v2, v4, v2
	s_waitcnt vmcnt(0)
	v_add_co_u32_e32 v4, vcc, v8, v1
	v_addc_co_u32_e32 v5, vcc, v9, v2, vcc
	global_load_dwordx2 v[12:13], v[4:5], off glc
	s_waitcnt vmcnt(0)
	global_atomic_cmpswap_x2 v[4:5], v35, v[12:15], s[2:3] offset:24 glc
	s_waitcnt vmcnt(0)
	buffer_invl2
	buffer_wbinvl1_vol
	v_cmp_ne_u64_e32 vcc, v[4:5], v[14:15]
	s_and_saveexec_b64 s[16:17], vcc
	s_cbranch_execz .LBB5_260
; %bb.257:                              ;   in Loop: Header=BB5_3 Depth=1
	s_mov_b64 s[18:19], 0
.LBB5_258:                              ;   Parent Loop BB5_3 Depth=1
                                        ; =>  This Inner Loop Header: Depth=2
	s_sleep 1
	global_load_dwordx2 v[8:9], v35, s[2:3] offset:40
	global_load_dwordx2 v[12:13], v35, s[2:3]
	v_pk_mov_b32 v[14:15], v[4:5], v[4:5] op_sel:[0,1]
	s_waitcnt vmcnt(1)
	v_and_b32_e32 v2, v8, v14
	s_waitcnt vmcnt(0)
	v_mad_u64_u32 v[4:5], s[20:21], v2, 24, v[12:13]
	v_and_b32_e32 v1, v9, v15
	v_mov_b32_e32 v2, v5
	v_mad_u64_u32 v[8:9], s[20:21], v1, 24, v[2:3]
	v_mov_b32_e32 v5, v8
	global_load_dwordx2 v[12:13], v[4:5], off glc
	s_waitcnt vmcnt(0)
	global_atomic_cmpswap_x2 v[4:5], v35, v[12:15], s[2:3] offset:24 glc
	s_waitcnt vmcnt(0)
	buffer_invl2
	buffer_wbinvl1_vol
	v_cmp_eq_u64_e32 vcc, v[4:5], v[14:15]
	s_or_b64 s[18:19], vcc, s[18:19]
	s_andn2_b64 exec, exec, s[18:19]
	s_cbranch_execnz .LBB5_258
; %bb.259:                              ;   in Loop: Header=BB5_3 Depth=1
	s_or_b64 exec, exec, s[18:19]
.LBB5_260:                              ;   in Loop: Header=BB5_3 Depth=1
	s_or_b64 exec, exec, s[16:17]
.LBB5_261:                              ;   in Loop: Header=BB5_3 Depth=1
	s_or_b64 exec, exec, s[14:15]
	global_load_dwordx2 v[8:9], v35, s[2:3] offset:40
	global_load_dwordx4 v[14:17], v35, s[2:3]
	v_readfirstlane_b32 s14, v4
	v_readfirstlane_b32 s15, v5
	s_mov_b64 s[16:17], exec
	s_waitcnt vmcnt(1)
	v_readfirstlane_b32 s18, v8
	v_readfirstlane_b32 s19, v9
	s_and_b64 s[18:19], s[14:15], s[18:19]
	s_mul_i32 s20, s19, 24
	s_mul_hi_u32 s21, s18, 24
	s_mul_i32 s22, s18, 24
	s_add_i32 s20, s21, s20
	v_mov_b32_e32 v1, s20
	s_waitcnt vmcnt(0)
	v_add_co_u32_e32 v18, vcc, s22, v14
	v_addc_co_u32_e32 v19, vcc, v15, v1, vcc
	s_and_saveexec_b64 s[20:21], s[0:1]
	s_cbranch_execz .LBB5_263
; %bb.262:                              ;   in Loop: Header=BB5_3 Depth=1
	v_pk_mov_b32 v[4:5], s[16:17], s[16:17] op_sel:[0,1]
	global_store_dwordx4 v[18:19], v[4:7], off offset:8
.LBB5_263:                              ;   in Loop: Header=BB5_3 Depth=1
	s_or_b64 exec, exec, s[20:21]
	s_lshl_b64 s[16:17], s[18:19], 12
	v_mov_b32_e32 v1, s17
	v_add_co_u32_e32 v4, vcc, s16, v16
	v_addc_co_u32_e32 v1, vcc, v17, v1, vcc
	v_and_or_b32 v10, v10, s30, 34
	v_mov_b32_e32 v12, v37
	v_mov_b32_e32 v13, v3
	v_readfirstlane_b32 s16, v4
	v_readfirstlane_b32 s17, v1
	s_nop 4
	global_store_dwordx4 v49, v[10:13], s[16:17]
	v_pk_mov_b32 v[8:9], s[8:9], s[8:9] op_sel:[0,1]
	v_pk_mov_b32 v[10:11], s[10:11], s[10:11] op_sel:[0,1]
	global_store_dwordx4 v49, v[8:11], s[16:17] offset:16
	global_store_dwordx4 v49, v[8:11], s[16:17] offset:32
	;; [unrolled: 1-line block ×3, first 2 shown]
	s_and_saveexec_b64 s[16:17], s[0:1]
	s_cbranch_execz .LBB5_271
; %bb.264:                              ;   in Loop: Header=BB5_3 Depth=1
	global_load_dwordx2 v[22:23], v35, s[2:3] offset:32 glc
	global_load_dwordx2 v[8:9], v35, s[2:3] offset:40
	v_mov_b32_e32 v20, s14
	v_mov_b32_e32 v21, s15
	s_waitcnt vmcnt(0)
	v_readfirstlane_b32 s18, v8
	v_readfirstlane_b32 s19, v9
	s_and_b64 s[18:19], s[18:19], s[14:15]
	s_mul_i32 s19, s19, 24
	s_mul_hi_u32 s20, s18, 24
	s_mul_i32 s18, s18, 24
	s_add_i32 s19, s20, s19
	v_mov_b32_e32 v2, s19
	v_add_co_u32_e32 v12, vcc, s18, v14
	v_addc_co_u32_e32 v13, vcc, v15, v2, vcc
	global_store_dwordx2 v[12:13], v[22:23], off
	buffer_wbl2
	s_waitcnt vmcnt(0)
	global_atomic_cmpswap_x2 v[10:11], v35, v[20:23], s[2:3] offset:32 glc
	s_waitcnt vmcnt(0)
	v_cmp_ne_u64_e32 vcc, v[10:11], v[22:23]
	s_and_saveexec_b64 s[18:19], vcc
	s_cbranch_execz .LBB5_267
; %bb.265:                              ;   in Loop: Header=BB5_3 Depth=1
	s_mov_b64 s[20:21], 0
.LBB5_266:                              ;   Parent Loop BB5_3 Depth=1
                                        ; =>  This Inner Loop Header: Depth=2
	s_sleep 1
	global_store_dwordx2 v[12:13], v[10:11], off
	v_mov_b32_e32 v8, s14
	v_mov_b32_e32 v9, s15
	buffer_wbl2
	s_waitcnt vmcnt(0)
	global_atomic_cmpswap_x2 v[8:9], v35, v[8:11], s[2:3] offset:32 glc
	s_waitcnt vmcnt(0)
	v_cmp_eq_u64_e32 vcc, v[8:9], v[10:11]
	s_or_b64 s[20:21], vcc, s[20:21]
	v_pk_mov_b32 v[10:11], v[8:9], v[8:9] op_sel:[0,1]
	s_andn2_b64 exec, exec, s[20:21]
	s_cbranch_execnz .LBB5_266
.LBB5_267:                              ;   in Loop: Header=BB5_3 Depth=1
	s_or_b64 exec, exec, s[18:19]
	global_load_dwordx2 v[8:9], v35, s[2:3] offset:16
	s_mov_b64 s[20:21], exec
	v_mbcnt_lo_u32_b32 v2, s20, 0
	v_mbcnt_hi_u32_b32 v2, s21, v2
	v_cmp_eq_u32_e32 vcc, 0, v2
	s_and_saveexec_b64 s[18:19], vcc
	s_cbranch_execz .LBB5_269
; %bb.268:                              ;   in Loop: Header=BB5_3 Depth=1
	s_bcnt1_i32_b64 s20, s[20:21]
	v_mov_b32_e32 v2, s20
	buffer_wbl2
	s_waitcnt vmcnt(0)
	global_atomic_add_x2 v[8:9], v[2:3], off offset:8
.LBB5_269:                              ;   in Loop: Header=BB5_3 Depth=1
	s_or_b64 exec, exec, s[18:19]
	s_waitcnt vmcnt(0)
	global_load_dwordx2 v[10:11], v[8:9], off offset:16
	s_waitcnt vmcnt(0)
	v_cmp_eq_u64_e32 vcc, 0, v[10:11]
	s_cbranch_vccnz .LBB5_271
; %bb.270:                              ;   in Loop: Header=BB5_3 Depth=1
	global_load_dword v34, v[8:9], off offset:24
	s_waitcnt vmcnt(0)
	v_and_b32_e32 v2, 0xffffff, v34
	v_readfirstlane_b32 m0, v2
	buffer_wbl2
	global_store_dwordx2 v[10:11], v[34:35], off
	s_sendmsg sendmsg(MSG_INTERRUPT)
.LBB5_271:                              ;   in Loop: Header=BB5_3 Depth=1
	s_or_b64 exec, exec, s[16:17]
	v_add_co_u32_e32 v4, vcc, v4, v49
	v_addc_co_u32_e32 v5, vcc, 0, v1, vcc
	s_branch .LBB5_275
.LBB5_272:                              ;   in Loop: Header=BB5_275 Depth=2
	s_or_b64 exec, exec, s[16:17]
	v_readfirstlane_b32 s16, v1
	s_cmp_eq_u32 s16, 0
	s_cbranch_scc1 .LBB5_274
; %bb.273:                              ;   in Loop: Header=BB5_275 Depth=2
	s_sleep 1
	s_cbranch_execnz .LBB5_275
	s_branch .LBB5_277
.LBB5_274:                              ;   in Loop: Header=BB5_3 Depth=1
	s_branch .LBB5_277
.LBB5_275:                              ;   Parent Loop BB5_3 Depth=1
                                        ; =>  This Inner Loop Header: Depth=2
	v_mov_b32_e32 v1, 1
	s_and_saveexec_b64 s[16:17], s[0:1]
	s_cbranch_execz .LBB5_272
; %bb.276:                              ;   in Loop: Header=BB5_275 Depth=2
	global_load_dword v1, v[18:19], off offset:20 glc
	s_waitcnt vmcnt(0)
	buffer_invl2
	buffer_wbinvl1_vol
	v_and_b32_e32 v1, 1, v1
	s_branch .LBB5_272
.LBB5_277:                              ;   in Loop: Header=BB5_3 Depth=1
	global_load_dwordx2 v[36:37], v[4:5], off
	s_and_saveexec_b64 s[16:17], s[0:1]
	s_cbranch_execz .LBB5_281
; %bb.278:                              ;   in Loop: Header=BB5_3 Depth=1
	global_load_dwordx2 v[4:5], v35, s[2:3] offset:40
	global_load_dwordx2 v[12:13], v35, s[2:3] offset:24 glc
	global_load_dwordx2 v[14:15], v35, s[2:3]
	v_mov_b32_e32 v1, s15
	s_waitcnt vmcnt(2)
	v_add_co_u32_e32 v2, vcc, 1, v4
	v_addc_co_u32_e32 v11, vcc, 0, v5, vcc
	v_add_co_u32_e32 v8, vcc, s14, v2
	v_addc_co_u32_e32 v9, vcc, v11, v1, vcc
	v_cmp_eq_u64_e32 vcc, 0, v[8:9]
	v_cndmask_b32_e32 v9, v9, v11, vcc
	v_cndmask_b32_e32 v8, v8, v2, vcc
	v_and_b32_e32 v1, v9, v5
	v_and_b32_e32 v2, v8, v4
	v_mul_lo_u32 v1, v1, 24
	v_mul_hi_u32 v4, v2, 24
	v_mul_lo_u32 v2, v2, 24
	v_add_u32_e32 v1, v4, v1
	s_waitcnt vmcnt(0)
	v_add_co_u32_e32 v4, vcc, v14, v2
	v_addc_co_u32_e32 v5, vcc, v15, v1, vcc
	v_mov_b32_e32 v10, v12
	global_store_dwordx2 v[4:5], v[12:13], off
	v_mov_b32_e32 v11, v13
	buffer_wbl2
	s_waitcnt vmcnt(0)
	global_atomic_cmpswap_x2 v[10:11], v35, v[8:11], s[2:3] offset:24 glc
	s_waitcnt vmcnt(0)
	v_cmp_ne_u64_e32 vcc, v[10:11], v[12:13]
	s_and_b64 exec, exec, vcc
	s_cbranch_execz .LBB5_281
; %bb.279:                              ;   in Loop: Header=BB5_3 Depth=1
	s_mov_b64 s[0:1], 0
.LBB5_280:                              ;   Parent Loop BB5_3 Depth=1
                                        ; =>  This Inner Loop Header: Depth=2
	s_sleep 1
	global_store_dwordx2 v[4:5], v[10:11], off
	buffer_wbl2
	s_waitcnt vmcnt(0)
	global_atomic_cmpswap_x2 v[12:13], v35, v[8:11], s[2:3] offset:24 glc
	s_waitcnt vmcnt(0)
	v_cmp_eq_u64_e32 vcc, v[12:13], v[10:11]
	s_or_b64 s[0:1], vcc, s[0:1]
	v_pk_mov_b32 v[10:11], v[12:13], v[12:13] op_sel:[0,1]
	s_andn2_b64 exec, exec, s[0:1]
	s_cbranch_execnz .LBB5_280
.LBB5_281:                              ;   in Loop: Header=BB5_3 Depth=1
	s_or_b64 exec, exec, s[16:17]
	ds_read_b32 v1, v33
	v_readfirstlane_b32 s0, v32
	v_cmp_eq_u32_e64 s[0:1], s0, v32
	v_pk_mov_b32 v[4:5], 0, 0
	s_waitcnt vmcnt(0) lgkmcnt(0)
	v_add_u32_e32 v37, v1, v30
	ds_write_b32 v46, v37
	s_and_saveexec_b64 s[14:15], s[0:1]
	s_cbranch_execz .LBB5_287
; %bb.282:                              ;   in Loop: Header=BB5_3 Depth=1
	global_load_dwordx2 v[10:11], v35, s[2:3] offset:24 glc
	s_waitcnt vmcnt(0)
	buffer_invl2
	buffer_wbinvl1_vol
	global_load_dwordx2 v[4:5], v35, s[2:3] offset:40
	global_load_dwordx2 v[8:9], v35, s[2:3]
	s_waitcnt vmcnt(1)
	v_and_b32_e32 v1, v4, v10
	v_and_b32_e32 v2, v5, v11
	v_mul_lo_u32 v2, v2, 24
	v_mul_hi_u32 v4, v1, 24
	v_mul_lo_u32 v1, v1, 24
	v_add_u32_e32 v2, v4, v2
	s_waitcnt vmcnt(0)
	v_add_co_u32_e32 v4, vcc, v8, v1
	v_addc_co_u32_e32 v5, vcc, v9, v2, vcc
	global_load_dwordx2 v[8:9], v[4:5], off glc
	s_waitcnt vmcnt(0)
	global_atomic_cmpswap_x2 v[4:5], v35, v[8:11], s[2:3] offset:24 glc
	s_waitcnt vmcnt(0)
	buffer_invl2
	buffer_wbinvl1_vol
	v_cmp_ne_u64_e32 vcc, v[4:5], v[10:11]
	s_and_saveexec_b64 s[16:17], vcc
	s_cbranch_execz .LBB5_286
; %bb.283:                              ;   in Loop: Header=BB5_3 Depth=1
	s_mov_b64 s[18:19], 0
.LBB5_284:                              ;   Parent Loop BB5_3 Depth=1
                                        ; =>  This Inner Loop Header: Depth=2
	s_sleep 1
	global_load_dwordx2 v[8:9], v35, s[2:3] offset:40
	global_load_dwordx2 v[12:13], v35, s[2:3]
	v_pk_mov_b32 v[10:11], v[4:5], v[4:5] op_sel:[0,1]
	s_waitcnt vmcnt(1)
	v_and_b32_e32 v2, v8, v10
	s_waitcnt vmcnt(0)
	v_mad_u64_u32 v[4:5], s[20:21], v2, 24, v[12:13]
	v_and_b32_e32 v1, v9, v11
	v_mov_b32_e32 v2, v5
	v_mad_u64_u32 v[8:9], s[20:21], v1, 24, v[2:3]
	v_mov_b32_e32 v5, v8
	global_load_dwordx2 v[8:9], v[4:5], off glc
	s_waitcnt vmcnt(0)
	global_atomic_cmpswap_x2 v[4:5], v35, v[8:11], s[2:3] offset:24 glc
	s_waitcnt vmcnt(0)
	buffer_invl2
	buffer_wbinvl1_vol
	v_cmp_eq_u64_e32 vcc, v[4:5], v[10:11]
	s_or_b64 s[18:19], vcc, s[18:19]
	s_andn2_b64 exec, exec, s[18:19]
	s_cbranch_execnz .LBB5_284
; %bb.285:                              ;   in Loop: Header=BB5_3 Depth=1
	s_or_b64 exec, exec, s[18:19]
.LBB5_286:                              ;   in Loop: Header=BB5_3 Depth=1
	s_or_b64 exec, exec, s[16:17]
.LBB5_287:                              ;   in Loop: Header=BB5_3 Depth=1
	s_or_b64 exec, exec, s[14:15]
	global_load_dwordx2 v[12:13], v35, s[2:3] offset:40
	global_load_dwordx4 v[8:11], v35, s[2:3]
	v_readfirstlane_b32 s14, v4
	v_readfirstlane_b32 s15, v5
	s_mov_b64 s[16:17], exec
	s_waitcnt vmcnt(1)
	v_readfirstlane_b32 s18, v12
	v_readfirstlane_b32 s19, v13
	s_and_b64 s[18:19], s[14:15], s[18:19]
	s_mul_i32 s20, s19, 24
	s_mul_hi_u32 s21, s18, 24
	s_mul_i32 s22, s18, 24
	s_add_i32 s20, s21, s20
	v_mov_b32_e32 v1, s20
	s_waitcnt vmcnt(0)
	v_add_co_u32_e32 v12, vcc, s22, v8
	v_addc_co_u32_e32 v13, vcc, v9, v1, vcc
	s_and_saveexec_b64 s[20:21], s[0:1]
	s_cbranch_execz .LBB5_289
; %bb.288:                              ;   in Loop: Header=BB5_3 Depth=1
	v_pk_mov_b32 v[4:5], s[16:17], s[16:17] op_sel:[0,1]
	global_store_dwordx4 v[12:13], v[4:7], off offset:8
.LBB5_289:                              ;   in Loop: Header=BB5_3 Depth=1
	s_or_b64 exec, exec, s[20:21]
	s_lshl_b64 s[16:17], s[18:19], 12
	v_mov_b32_e32 v1, s17
	v_add_co_u32_e32 v4, vcc, s16, v10
	v_addc_co_u32_e32 v5, vcc, v11, v1, vcc
	v_pk_mov_b32 v[16:17], s[10:11], s[10:11] op_sel:[0,1]
	v_mov_b32_e32 v1, v3
	v_mov_b32_e32 v2, v3
	v_readfirstlane_b32 s16, v4
	v_readfirstlane_b32 s17, v5
	v_pk_mov_b32 v[14:15], s[8:9], s[8:9] op_sel:[0,1]
	s_nop 3
	global_store_dwordx4 v49, v[0:3], s[16:17]
	global_store_dwordx4 v49, v[14:17], s[16:17] offset:16
	global_store_dwordx4 v49, v[14:17], s[16:17] offset:32
	;; [unrolled: 1-line block ×3, first 2 shown]
	s_and_saveexec_b64 s[16:17], s[0:1]
	s_cbranch_execz .LBB5_297
; %bb.290:                              ;   in Loop: Header=BB5_3 Depth=1
	global_load_dwordx2 v[18:19], v35, s[2:3] offset:32 glc
	global_load_dwordx2 v[10:11], v35, s[2:3] offset:40
	v_mov_b32_e32 v16, s14
	v_mov_b32_e32 v17, s15
	s_waitcnt vmcnt(0)
	v_readfirstlane_b32 s18, v10
	v_readfirstlane_b32 s19, v11
	s_and_b64 s[18:19], s[18:19], s[14:15]
	s_mul_i32 s19, s19, 24
	s_mul_hi_u32 s20, s18, 24
	s_mul_i32 s18, s18, 24
	s_add_i32 s19, s20, s19
	v_mov_b32_e32 v1, s19
	v_add_co_u32_e32 v14, vcc, s18, v8
	v_addc_co_u32_e32 v15, vcc, v9, v1, vcc
	global_store_dwordx2 v[14:15], v[18:19], off
	buffer_wbl2
	s_waitcnt vmcnt(0)
	global_atomic_cmpswap_x2 v[10:11], v35, v[16:19], s[2:3] offset:32 glc
	s_waitcnt vmcnt(0)
	v_cmp_ne_u64_e32 vcc, v[10:11], v[18:19]
	s_and_saveexec_b64 s[18:19], vcc
	s_cbranch_execz .LBB5_293
; %bb.291:                              ;   in Loop: Header=BB5_3 Depth=1
	s_mov_b64 s[20:21], 0
.LBB5_292:                              ;   Parent Loop BB5_3 Depth=1
                                        ; =>  This Inner Loop Header: Depth=2
	s_sleep 1
	global_store_dwordx2 v[14:15], v[10:11], off
	v_mov_b32_e32 v8, s14
	v_mov_b32_e32 v9, s15
	buffer_wbl2
	s_waitcnt vmcnt(0)
	global_atomic_cmpswap_x2 v[8:9], v35, v[8:11], s[2:3] offset:32 glc
	s_waitcnt vmcnt(0)
	v_cmp_eq_u64_e32 vcc, v[8:9], v[10:11]
	s_or_b64 s[20:21], vcc, s[20:21]
	v_pk_mov_b32 v[10:11], v[8:9], v[8:9] op_sel:[0,1]
	s_andn2_b64 exec, exec, s[20:21]
	s_cbranch_execnz .LBB5_292
.LBB5_293:                              ;   in Loop: Header=BB5_3 Depth=1
	s_or_b64 exec, exec, s[18:19]
	global_load_dwordx2 v[8:9], v35, s[2:3] offset:16
	s_mov_b64 s[20:21], exec
	v_mbcnt_lo_u32_b32 v1, s20, 0
	v_mbcnt_hi_u32_b32 v1, s21, v1
	v_cmp_eq_u32_e32 vcc, 0, v1
	s_and_saveexec_b64 s[18:19], vcc
	s_cbranch_execz .LBB5_295
; %bb.294:                              ;   in Loop: Header=BB5_3 Depth=1
	s_bcnt1_i32_b64 s20, s[20:21]
	v_mov_b32_e32 v2, s20
	buffer_wbl2
	s_waitcnt vmcnt(0)
	global_atomic_add_x2 v[8:9], v[2:3], off offset:8
.LBB5_295:                              ;   in Loop: Header=BB5_3 Depth=1
	s_or_b64 exec, exec, s[18:19]
	s_waitcnt vmcnt(0)
	global_load_dwordx2 v[10:11], v[8:9], off offset:16
	s_waitcnt vmcnt(0)
	v_cmp_eq_u64_e32 vcc, 0, v[10:11]
	s_cbranch_vccnz .LBB5_297
; %bb.296:                              ;   in Loop: Header=BB5_3 Depth=1
	global_load_dword v34, v[8:9], off offset:24
	s_waitcnt vmcnt(0)
	v_and_b32_e32 v1, 0xffffff, v34
	v_readfirstlane_b32 m0, v1
	buffer_wbl2
	global_store_dwordx2 v[10:11], v[34:35], off
	s_sendmsg sendmsg(MSG_INTERRUPT)
.LBB5_297:                              ;   in Loop: Header=BB5_3 Depth=1
	s_or_b64 exec, exec, s[16:17]
	v_add_co_u32_e32 v4, vcc, v4, v49
	v_addc_co_u32_e32 v5, vcc, 0, v5, vcc
	s_branch .LBB5_301
.LBB5_298:                              ;   in Loop: Header=BB5_301 Depth=2
	s_or_b64 exec, exec, s[16:17]
	v_readfirstlane_b32 s16, v1
	s_cmp_eq_u32 s16, 0
	s_cbranch_scc1 .LBB5_300
; %bb.299:                              ;   in Loop: Header=BB5_301 Depth=2
	s_sleep 1
	s_cbranch_execnz .LBB5_301
	s_branch .LBB5_303
.LBB5_300:                              ;   in Loop: Header=BB5_3 Depth=1
	s_branch .LBB5_303
.LBB5_301:                              ;   Parent Loop BB5_3 Depth=1
                                        ; =>  This Inner Loop Header: Depth=2
	v_mov_b32_e32 v1, 1
	s_and_saveexec_b64 s[16:17], s[0:1]
	s_cbranch_execz .LBB5_298
; %bb.302:                              ;   in Loop: Header=BB5_301 Depth=2
	global_load_dword v1, v[12:13], off offset:20 glc
	s_waitcnt vmcnt(0)
	buffer_invl2
	buffer_wbinvl1_vol
	v_and_b32_e32 v1, 1, v1
	s_branch .LBB5_298
.LBB5_303:                              ;   in Loop: Header=BB5_3 Depth=1
	global_load_dwordx2 v[12:13], v[4:5], off
	s_and_saveexec_b64 s[16:17], s[0:1]
	s_cbranch_execz .LBB5_307
; %bb.304:                              ;   in Loop: Header=BB5_3 Depth=1
	global_load_dwordx2 v[4:5], v35, s[2:3] offset:40
	global_load_dwordx2 v[14:15], v35, s[2:3] offset:24 glc
	global_load_dwordx2 v[16:17], v35, s[2:3]
	v_mov_b32_e32 v1, s15
	s_waitcnt vmcnt(2)
	v_add_co_u32_e32 v2, vcc, 1, v4
	v_addc_co_u32_e32 v11, vcc, 0, v5, vcc
	v_add_co_u32_e32 v8, vcc, s14, v2
	v_addc_co_u32_e32 v9, vcc, v11, v1, vcc
	v_cmp_eq_u64_e32 vcc, 0, v[8:9]
	v_cndmask_b32_e32 v9, v9, v11, vcc
	v_cndmask_b32_e32 v8, v8, v2, vcc
	v_and_b32_e32 v1, v9, v5
	v_and_b32_e32 v2, v8, v4
	v_mul_lo_u32 v1, v1, 24
	v_mul_hi_u32 v4, v2, 24
	v_mul_lo_u32 v2, v2, 24
	v_add_u32_e32 v1, v4, v1
	s_waitcnt vmcnt(0)
	v_add_co_u32_e32 v4, vcc, v16, v2
	v_addc_co_u32_e32 v5, vcc, v17, v1, vcc
	v_mov_b32_e32 v10, v14
	global_store_dwordx2 v[4:5], v[14:15], off
	v_mov_b32_e32 v11, v15
	buffer_wbl2
	s_waitcnt vmcnt(0)
	global_atomic_cmpswap_x2 v[10:11], v35, v[8:11], s[2:3] offset:24 glc
	s_waitcnt vmcnt(0)
	v_cmp_ne_u64_e32 vcc, v[10:11], v[14:15]
	s_and_b64 exec, exec, vcc
	s_cbranch_execz .LBB5_307
; %bb.305:                              ;   in Loop: Header=BB5_3 Depth=1
	s_mov_b64 s[0:1], 0
.LBB5_306:                              ;   Parent Loop BB5_3 Depth=1
                                        ; =>  This Inner Loop Header: Depth=2
	s_sleep 1
	global_store_dwordx2 v[4:5], v[10:11], off
	buffer_wbl2
	s_waitcnt vmcnt(0)
	global_atomic_cmpswap_x2 v[14:15], v35, v[8:11], s[2:3] offset:24 glc
	s_waitcnt vmcnt(0)
	v_cmp_eq_u64_e32 vcc, v[14:15], v[10:11]
	s_or_b64 s[0:1], vcc, s[0:1]
	v_pk_mov_b32 v[10:11], v[14:15], v[14:15] op_sel:[0,1]
	s_andn2_b64 exec, exec, s[0:1]
	s_cbranch_execnz .LBB5_306
.LBB5_307:                              ;   in Loop: Header=BB5_3 Depth=1
	s_or_b64 exec, exec, s[16:17]
	s_and_b64 vcc, exec, s[4:5]
	s_cbranch_vccz .LBB5_477
; %bb.308:                              ;   in Loop: Header=BB5_3 Depth=1
	s_waitcnt vmcnt(0)
	v_and_b32_e32 v38, 2, v12
	v_and_b32_e32 v8, -3, v12
	v_mov_b32_e32 v9, v13
	s_mov_b64 s[16:17], 6
	s_getpc_b64 s[14:15]
	s_add_u32 s14, s14, .str.7@rel32@lo+4
	s_addc_u32 s15, s15, .str.7@rel32@hi+12
	s_branch .LBB5_310
.LBB5_309:                              ;   in Loop: Header=BB5_310 Depth=2
	s_or_b64 exec, exec, s[22:23]
	s_sub_u32 s16, s16, s18
	s_subb_u32 s17, s17, s19
	s_add_u32 s14, s14, s18
	s_addc_u32 s15, s15, s19
	s_cmp_lg_u64 s[16:17], 0
	s_cbranch_scc0 .LBB5_391
.LBB5_310:                              ;   Parent Loop BB5_3 Depth=1
                                        ; =>  This Loop Header: Depth=2
                                        ;       Child Loop BB5_313 Depth 3
                                        ;       Child Loop BB5_320 Depth 3
	;; [unrolled: 1-line block ×11, first 2 shown]
	v_cmp_lt_u64_e64 s[0:1], s[16:17], 56
	s_and_b64 s[0:1], s[0:1], exec
	v_cmp_gt_u64_e64 s[0:1], s[16:17], 7
	s_cselect_b32 s19, s17, 0
	s_cselect_b32 s18, s16, 56
	s_and_b64 vcc, exec, s[0:1]
	s_cbranch_vccnz .LBB5_315
; %bb.311:                              ;   in Loop: Header=BB5_310 Depth=2
	s_mov_b64 s[0:1], 0
	s_cmp_eq_u64 s[16:17], 0
	s_waitcnt vmcnt(0)
	v_pk_mov_b32 v[10:11], 0, 0
	s_cbranch_scc1 .LBB5_314
; %bb.312:                              ;   in Loop: Header=BB5_310 Depth=2
	s_lshl_b64 s[20:21], s[18:19], 3
	s_mov_b64 s[22:23], 0
	v_pk_mov_b32 v[10:11], 0, 0
	s_mov_b64 s[24:25], s[14:15]
.LBB5_313:                              ;   Parent Loop BB5_3 Depth=1
                                        ;     Parent Loop BB5_310 Depth=2
                                        ; =>    This Inner Loop Header: Depth=3
	global_load_ubyte v1, v35, s[24:25]
	s_waitcnt vmcnt(0)
	v_and_b32_e32 v34, 0xffff, v1
	v_lshlrev_b64 v[4:5], s22, v[34:35]
	s_add_u32 s22, s22, 8
	s_addc_u32 s23, s23, 0
	s_add_u32 s24, s24, 1
	s_addc_u32 s25, s25, 0
	v_or_b32_e32 v10, v4, v10
	s_cmp_lg_u32 s20, s22
	v_or_b32_e32 v11, v5, v11
	s_cbranch_scc1 .LBB5_313
.LBB5_314:                              ;   in Loop: Header=BB5_310 Depth=2
	s_mov_b32 s24, 0
	s_andn2_b64 vcc, exec, s[0:1]
	s_mov_b64 s[0:1], s[14:15]
	s_cbranch_vccz .LBB5_316
	s_branch .LBB5_317
.LBB5_315:                              ;   in Loop: Header=BB5_310 Depth=2
                                        ; implicit-def: $vgpr10_vgpr11
                                        ; implicit-def: $sgpr24
	s_mov_b64 s[0:1], s[14:15]
.LBB5_316:                              ;   in Loop: Header=BB5_310 Depth=2
	global_load_dwordx2 v[10:11], v35, s[14:15]
	s_add_i32 s24, s18, -8
	s_add_u32 s0, s14, 8
	s_addc_u32 s1, s15, 0
.LBB5_317:                              ;   in Loop: Header=BB5_310 Depth=2
	s_cmp_gt_u32 s24, 7
	s_cbranch_scc1 .LBB5_321
; %bb.318:                              ;   in Loop: Header=BB5_310 Depth=2
	s_cmp_eq_u32 s24, 0
	s_cbranch_scc1 .LBB5_322
; %bb.319:                              ;   in Loop: Header=BB5_310 Depth=2
	s_mov_b64 s[20:21], 0
	v_pk_mov_b32 v[14:15], 0, 0
	s_mov_b64 s[22:23], 0
.LBB5_320:                              ;   Parent Loop BB5_3 Depth=1
                                        ;     Parent Loop BB5_310 Depth=2
                                        ; =>    This Inner Loop Header: Depth=3
	s_add_u32 s26, s0, s22
	s_addc_u32 s27, s1, s23
	global_load_ubyte v1, v35, s[26:27]
	s_add_u32 s22, s22, 1
	s_addc_u32 s23, s23, 0
	s_waitcnt vmcnt(0)
	v_and_b32_e32 v34, 0xffff, v1
	v_lshlrev_b64 v[4:5], s20, v[34:35]
	s_add_u32 s20, s20, 8
	s_addc_u32 s21, s21, 0
	v_or_b32_e32 v14, v4, v14
	s_cmp_lg_u32 s24, s22
	v_or_b32_e32 v15, v5, v15
	s_cbranch_scc1 .LBB5_320
	s_branch .LBB5_323
.LBB5_321:                              ;   in Loop: Header=BB5_310 Depth=2
                                        ; implicit-def: $vgpr14_vgpr15
                                        ; implicit-def: $sgpr25
	s_branch .LBB5_324
.LBB5_322:                              ;   in Loop: Header=BB5_310 Depth=2
	v_pk_mov_b32 v[14:15], 0, 0
.LBB5_323:                              ;   in Loop: Header=BB5_310 Depth=2
	s_mov_b32 s25, 0
	s_cbranch_execnz .LBB5_325
.LBB5_324:                              ;   in Loop: Header=BB5_310 Depth=2
	global_load_dwordx2 v[14:15], v35, s[0:1]
	s_add_i32 s25, s24, -8
	s_add_u32 s0, s0, 8
	s_addc_u32 s1, s1, 0
.LBB5_325:                              ;   in Loop: Header=BB5_310 Depth=2
	s_cmp_gt_u32 s25, 7
	s_cbranch_scc1 .LBB5_329
; %bb.326:                              ;   in Loop: Header=BB5_310 Depth=2
	s_cmp_eq_u32 s25, 0
	s_cbranch_scc1 .LBB5_330
; %bb.327:                              ;   in Loop: Header=BB5_310 Depth=2
	s_mov_b64 s[20:21], 0
	v_pk_mov_b32 v[16:17], 0, 0
	s_mov_b64 s[22:23], 0
.LBB5_328:                              ;   Parent Loop BB5_3 Depth=1
                                        ;     Parent Loop BB5_310 Depth=2
                                        ; =>    This Inner Loop Header: Depth=3
	s_add_u32 s26, s0, s22
	s_addc_u32 s27, s1, s23
	global_load_ubyte v1, v35, s[26:27]
	s_add_u32 s22, s22, 1
	s_addc_u32 s23, s23, 0
	s_waitcnt vmcnt(0)
	v_and_b32_e32 v34, 0xffff, v1
	v_lshlrev_b64 v[4:5], s20, v[34:35]
	s_add_u32 s20, s20, 8
	s_addc_u32 s21, s21, 0
	v_or_b32_e32 v16, v4, v16
	s_cmp_lg_u32 s25, s22
	v_or_b32_e32 v17, v5, v17
	s_cbranch_scc1 .LBB5_328
	s_branch .LBB5_331
.LBB5_329:                              ;   in Loop: Header=BB5_310 Depth=2
                                        ; implicit-def: $sgpr24
	s_branch .LBB5_332
.LBB5_330:                              ;   in Loop: Header=BB5_310 Depth=2
	v_pk_mov_b32 v[16:17], 0, 0
.LBB5_331:                              ;   in Loop: Header=BB5_310 Depth=2
	s_mov_b32 s24, 0
	s_cbranch_execnz .LBB5_333
.LBB5_332:                              ;   in Loop: Header=BB5_310 Depth=2
	global_load_dwordx2 v[16:17], v35, s[0:1]
	s_add_i32 s24, s25, -8
	s_add_u32 s0, s0, 8
	s_addc_u32 s1, s1, 0
.LBB5_333:                              ;   in Loop: Header=BB5_310 Depth=2
	s_cmp_gt_u32 s24, 7
	s_cbranch_scc1 .LBB5_337
; %bb.334:                              ;   in Loop: Header=BB5_310 Depth=2
	s_cmp_eq_u32 s24, 0
	s_cbranch_scc1 .LBB5_338
; %bb.335:                              ;   in Loop: Header=BB5_310 Depth=2
	s_mov_b64 s[20:21], 0
	v_pk_mov_b32 v[18:19], 0, 0
	s_mov_b64 s[22:23], 0
.LBB5_336:                              ;   Parent Loop BB5_3 Depth=1
                                        ;     Parent Loop BB5_310 Depth=2
                                        ; =>    This Inner Loop Header: Depth=3
	s_add_u32 s26, s0, s22
	s_addc_u32 s27, s1, s23
	global_load_ubyte v1, v35, s[26:27]
	s_add_u32 s22, s22, 1
	s_addc_u32 s23, s23, 0
	s_waitcnt vmcnt(0)
	v_and_b32_e32 v34, 0xffff, v1
	v_lshlrev_b64 v[4:5], s20, v[34:35]
	s_add_u32 s20, s20, 8
	s_addc_u32 s21, s21, 0
	v_or_b32_e32 v18, v4, v18
	s_cmp_lg_u32 s24, s22
	v_or_b32_e32 v19, v5, v19
	s_cbranch_scc1 .LBB5_336
	s_branch .LBB5_339
.LBB5_337:                              ;   in Loop: Header=BB5_310 Depth=2
                                        ; implicit-def: $vgpr18_vgpr19
                                        ; implicit-def: $sgpr25
	s_branch .LBB5_340
.LBB5_338:                              ;   in Loop: Header=BB5_310 Depth=2
	v_pk_mov_b32 v[18:19], 0, 0
.LBB5_339:                              ;   in Loop: Header=BB5_310 Depth=2
	s_mov_b32 s25, 0
	s_cbranch_execnz .LBB5_341
.LBB5_340:                              ;   in Loop: Header=BB5_310 Depth=2
	global_load_dwordx2 v[18:19], v35, s[0:1]
	s_add_i32 s25, s24, -8
	s_add_u32 s0, s0, 8
	s_addc_u32 s1, s1, 0
.LBB5_341:                              ;   in Loop: Header=BB5_310 Depth=2
	s_cmp_gt_u32 s25, 7
	s_cbranch_scc1 .LBB5_345
; %bb.342:                              ;   in Loop: Header=BB5_310 Depth=2
	s_cmp_eq_u32 s25, 0
	s_cbranch_scc1 .LBB5_346
; %bb.343:                              ;   in Loop: Header=BB5_310 Depth=2
	s_mov_b64 s[20:21], 0
	v_pk_mov_b32 v[20:21], 0, 0
	s_mov_b64 s[22:23], 0
.LBB5_344:                              ;   Parent Loop BB5_3 Depth=1
                                        ;     Parent Loop BB5_310 Depth=2
                                        ; =>    This Inner Loop Header: Depth=3
	s_add_u32 s26, s0, s22
	s_addc_u32 s27, s1, s23
	global_load_ubyte v1, v35, s[26:27]
	s_add_u32 s22, s22, 1
	s_addc_u32 s23, s23, 0
	s_waitcnt vmcnt(0)
	v_and_b32_e32 v34, 0xffff, v1
	v_lshlrev_b64 v[4:5], s20, v[34:35]
	s_add_u32 s20, s20, 8
	s_addc_u32 s21, s21, 0
	v_or_b32_e32 v20, v4, v20
	s_cmp_lg_u32 s25, s22
	v_or_b32_e32 v21, v5, v21
	s_cbranch_scc1 .LBB5_344
	s_branch .LBB5_347
.LBB5_345:                              ;   in Loop: Header=BB5_310 Depth=2
                                        ; implicit-def: $sgpr24
	s_branch .LBB5_348
.LBB5_346:                              ;   in Loop: Header=BB5_310 Depth=2
	v_pk_mov_b32 v[20:21], 0, 0
.LBB5_347:                              ;   in Loop: Header=BB5_310 Depth=2
	s_mov_b32 s24, 0
	s_cbranch_execnz .LBB5_349
.LBB5_348:                              ;   in Loop: Header=BB5_310 Depth=2
	global_load_dwordx2 v[20:21], v35, s[0:1]
	s_add_i32 s24, s25, -8
	s_add_u32 s0, s0, 8
	s_addc_u32 s1, s1, 0
.LBB5_349:                              ;   in Loop: Header=BB5_310 Depth=2
	s_cmp_gt_u32 s24, 7
	s_cbranch_scc1 .LBB5_353
; %bb.350:                              ;   in Loop: Header=BB5_310 Depth=2
	s_cmp_eq_u32 s24, 0
	s_cbranch_scc1 .LBB5_354
; %bb.351:                              ;   in Loop: Header=BB5_310 Depth=2
	s_mov_b64 s[20:21], 0
	v_pk_mov_b32 v[22:23], 0, 0
	s_mov_b64 s[22:23], 0
.LBB5_352:                              ;   Parent Loop BB5_3 Depth=1
                                        ;     Parent Loop BB5_310 Depth=2
                                        ; =>    This Inner Loop Header: Depth=3
	s_add_u32 s26, s0, s22
	s_addc_u32 s27, s1, s23
	global_load_ubyte v1, v35, s[26:27]
	s_add_u32 s22, s22, 1
	s_addc_u32 s23, s23, 0
	s_waitcnt vmcnt(0)
	v_and_b32_e32 v34, 0xffff, v1
	v_lshlrev_b64 v[4:5], s20, v[34:35]
	s_add_u32 s20, s20, 8
	s_addc_u32 s21, s21, 0
	v_or_b32_e32 v22, v4, v22
	s_cmp_lg_u32 s24, s22
	v_or_b32_e32 v23, v5, v23
	s_cbranch_scc1 .LBB5_352
	s_branch .LBB5_355
.LBB5_353:                              ;   in Loop: Header=BB5_310 Depth=2
                                        ; implicit-def: $vgpr22_vgpr23
                                        ; implicit-def: $sgpr25
	s_branch .LBB5_356
.LBB5_354:                              ;   in Loop: Header=BB5_310 Depth=2
	v_pk_mov_b32 v[22:23], 0, 0
.LBB5_355:                              ;   in Loop: Header=BB5_310 Depth=2
	s_mov_b32 s25, 0
	s_cbranch_execnz .LBB5_357
.LBB5_356:                              ;   in Loop: Header=BB5_310 Depth=2
	global_load_dwordx2 v[22:23], v35, s[0:1]
	s_add_i32 s25, s24, -8
	s_add_u32 s0, s0, 8
	s_addc_u32 s1, s1, 0
.LBB5_357:                              ;   in Loop: Header=BB5_310 Depth=2
	s_cmp_gt_u32 s25, 7
	s_cbranch_scc1 .LBB5_361
; %bb.358:                              ;   in Loop: Header=BB5_310 Depth=2
	s_cmp_eq_u32 s25, 0
	s_cbranch_scc1 .LBB5_362
; %bb.359:                              ;   in Loop: Header=BB5_310 Depth=2
	s_mov_b64 s[20:21], 0
	v_pk_mov_b32 v[24:25], 0, 0
	s_mov_b64 s[22:23], s[0:1]
.LBB5_360:                              ;   Parent Loop BB5_3 Depth=1
                                        ;     Parent Loop BB5_310 Depth=2
                                        ; =>    This Inner Loop Header: Depth=3
	global_load_ubyte v1, v35, s[22:23]
	s_add_i32 s25, s25, -1
	s_waitcnt vmcnt(0)
	v_and_b32_e32 v34, 0xffff, v1
	v_lshlrev_b64 v[4:5], s20, v[34:35]
	s_add_u32 s20, s20, 8
	s_addc_u32 s21, s21, 0
	s_add_u32 s22, s22, 1
	s_addc_u32 s23, s23, 0
	v_or_b32_e32 v24, v4, v24
	s_cmp_lg_u32 s25, 0
	v_or_b32_e32 v25, v5, v25
	s_cbranch_scc1 .LBB5_360
	s_branch .LBB5_363
.LBB5_361:                              ;   in Loop: Header=BB5_310 Depth=2
	s_branch .LBB5_364
.LBB5_362:                              ;   in Loop: Header=BB5_310 Depth=2
	v_pk_mov_b32 v[24:25], 0, 0
.LBB5_363:                              ;   in Loop: Header=BB5_310 Depth=2
	s_cbranch_execnz .LBB5_365
.LBB5_364:                              ;   in Loop: Header=BB5_310 Depth=2
	global_load_dwordx2 v[24:25], v35, s[0:1]
.LBB5_365:                              ;   in Loop: Header=BB5_310 Depth=2
	v_readfirstlane_b32 s0, v32
	v_cmp_eq_u32_e64 s[0:1], s0, v32
	v_pk_mov_b32 v[4:5], 0, 0
	s_and_saveexec_b64 s[20:21], s[0:1]
	s_cbranch_execz .LBB5_371
; %bb.366:                              ;   in Loop: Header=BB5_310 Depth=2
	global_load_dwordx2 v[28:29], v35, s[2:3] offset:24 glc
	s_waitcnt vmcnt(0)
	buffer_invl2
	buffer_wbinvl1_vol
	global_load_dwordx2 v[4:5], v35, s[2:3] offset:40
	global_load_dwordx2 v[26:27], v35, s[2:3]
	s_waitcnt vmcnt(1)
	v_and_b32_e32 v1, v4, v28
	v_and_b32_e32 v2, v5, v29
	v_mul_lo_u32 v2, v2, 24
	v_mul_hi_u32 v4, v1, 24
	v_mul_lo_u32 v1, v1, 24
	v_add_u32_e32 v2, v4, v2
	s_waitcnt vmcnt(0)
	v_add_co_u32_e32 v4, vcc, v26, v1
	v_addc_co_u32_e32 v5, vcc, v27, v2, vcc
	global_load_dwordx2 v[26:27], v[4:5], off glc
	s_waitcnt vmcnt(0)
	global_atomic_cmpswap_x2 v[4:5], v35, v[26:29], s[2:3] offset:24 glc
	s_waitcnt vmcnt(0)
	buffer_invl2
	buffer_wbinvl1_vol
	v_cmp_ne_u64_e32 vcc, v[4:5], v[28:29]
	s_and_saveexec_b64 s[22:23], vcc
	s_cbranch_execz .LBB5_370
; %bb.367:                              ;   in Loop: Header=BB5_310 Depth=2
	s_mov_b64 s[24:25], 0
.LBB5_368:                              ;   Parent Loop BB5_3 Depth=1
                                        ;     Parent Loop BB5_310 Depth=2
                                        ; =>    This Inner Loop Header: Depth=3
	s_sleep 1
	global_load_dwordx2 v[26:27], v35, s[2:3] offset:40
	global_load_dwordx2 v[40:41], v35, s[2:3]
	v_pk_mov_b32 v[28:29], v[4:5], v[4:5] op_sel:[0,1]
	s_waitcnt vmcnt(1)
	v_and_b32_e32 v2, v26, v28
	s_waitcnt vmcnt(0)
	v_mad_u64_u32 v[4:5], s[26:27], v2, 24, v[40:41]
	v_and_b32_e32 v1, v27, v29
	v_mov_b32_e32 v2, v5
	v_mad_u64_u32 v[26:27], s[26:27], v1, 24, v[2:3]
	v_mov_b32_e32 v5, v26
	global_load_dwordx2 v[26:27], v[4:5], off glc
	s_waitcnt vmcnt(0)
	global_atomic_cmpswap_x2 v[4:5], v35, v[26:29], s[2:3] offset:24 glc
	s_waitcnt vmcnt(0)
	buffer_invl2
	buffer_wbinvl1_vol
	v_cmp_eq_u64_e32 vcc, v[4:5], v[28:29]
	s_or_b64 s[24:25], vcc, s[24:25]
	s_andn2_b64 exec, exec, s[24:25]
	s_cbranch_execnz .LBB5_368
; %bb.369:                              ;   in Loop: Header=BB5_310 Depth=2
	s_or_b64 exec, exec, s[24:25]
.LBB5_370:                              ;   in Loop: Header=BB5_310 Depth=2
	s_or_b64 exec, exec, s[22:23]
.LBB5_371:                              ;   in Loop: Header=BB5_310 Depth=2
	s_or_b64 exec, exec, s[20:21]
	global_load_dwordx2 v[40:41], v35, s[2:3] offset:40
	global_load_dwordx4 v[26:29], v35, s[2:3]
	v_readfirstlane_b32 s20, v4
	v_readfirstlane_b32 s21, v5
	s_mov_b64 s[22:23], exec
	s_waitcnt vmcnt(1)
	v_readfirstlane_b32 s24, v40
	v_readfirstlane_b32 s25, v41
	s_and_b64 s[24:25], s[20:21], s[24:25]
	s_mul_i32 s26, s25, 24
	s_mul_hi_u32 s27, s24, 24
	s_mul_i32 s33, s24, 24
	s_add_i32 s26, s27, s26
	v_mov_b32_e32 v1, s26
	s_waitcnt vmcnt(0)
	v_add_co_u32_e32 v40, vcc, s33, v26
	v_addc_co_u32_e32 v41, vcc, v27, v1, vcc
	s_and_saveexec_b64 s[26:27], s[0:1]
	s_cbranch_execz .LBB5_373
; %bb.372:                              ;   in Loop: Header=BB5_310 Depth=2
	v_pk_mov_b32 v[4:5], s[22:23], s[22:23] op_sel:[0,1]
	global_store_dwordx4 v[40:41], v[4:7], off offset:8
.LBB5_373:                              ;   in Loop: Header=BB5_310 Depth=2
	s_or_b64 exec, exec, s[26:27]
	s_lshl_b64 s[22:23], s[24:25], 12
	v_mov_b32_e32 v1, s23
	v_add_co_u32_e32 v4, vcc, s22, v28
	v_addc_co_u32_e32 v1, vcc, v29, v1, vcc
	v_or_b32_e32 v2, 0, v9
	v_or_b32_e32 v5, v8, v38
	v_cmp_gt_u64_e64 vcc, s[16:17], 56
	s_lshl_b32 s22, s18, 2
	v_cndmask_b32_e32 v9, v2, v9, vcc
	v_cndmask_b32_e32 v2, v5, v8, vcc
	s_add_i32 s22, s22, 28
	s_and_b32 s22, s22, 0x1e0
	v_and_b32_e32 v2, 0xffffff1f, v2
	v_or_b32_e32 v8, s22, v2
	v_readfirstlane_b32 s22, v4
	v_readfirstlane_b32 s23, v1
	s_nop 4
	global_store_dwordx4 v49, v[8:11], s[22:23]
	global_store_dwordx4 v49, v[14:17], s[22:23] offset:16
	global_store_dwordx4 v49, v[18:21], s[22:23] offset:32
	;; [unrolled: 1-line block ×3, first 2 shown]
	s_and_saveexec_b64 s[22:23], s[0:1]
	s_cbranch_execz .LBB5_381
; %bb.374:                              ;   in Loop: Header=BB5_310 Depth=2
	global_load_dwordx2 v[18:19], v35, s[2:3] offset:32 glc
	global_load_dwordx2 v[8:9], v35, s[2:3] offset:40
	v_mov_b32_e32 v16, s20
	v_mov_b32_e32 v17, s21
	s_waitcnt vmcnt(0)
	v_readfirstlane_b32 s24, v8
	v_readfirstlane_b32 s25, v9
	s_and_b64 s[24:25], s[24:25], s[20:21]
	s_mul_i32 s25, s25, 24
	s_mul_hi_u32 s26, s24, 24
	s_mul_i32 s24, s24, 24
	s_add_i32 s25, s26, s25
	v_mov_b32_e32 v2, s25
	v_add_co_u32_e32 v14, vcc, s24, v26
	v_addc_co_u32_e32 v15, vcc, v27, v2, vcc
	global_store_dwordx2 v[14:15], v[18:19], off
	buffer_wbl2
	s_waitcnt vmcnt(0)
	global_atomic_cmpswap_x2 v[10:11], v35, v[16:19], s[2:3] offset:32 glc
	s_waitcnt vmcnt(0)
	v_cmp_ne_u64_e32 vcc, v[10:11], v[18:19]
	s_and_saveexec_b64 s[24:25], vcc
	s_cbranch_execz .LBB5_377
; %bb.375:                              ;   in Loop: Header=BB5_310 Depth=2
	s_mov_b64 s[26:27], 0
.LBB5_376:                              ;   Parent Loop BB5_3 Depth=1
                                        ;     Parent Loop BB5_310 Depth=2
                                        ; =>    This Inner Loop Header: Depth=3
	s_sleep 1
	global_store_dwordx2 v[14:15], v[10:11], off
	v_mov_b32_e32 v8, s20
	v_mov_b32_e32 v9, s21
	buffer_wbl2
	s_waitcnt vmcnt(0)
	global_atomic_cmpswap_x2 v[8:9], v35, v[8:11], s[2:3] offset:32 glc
	s_waitcnt vmcnt(0)
	v_cmp_eq_u64_e32 vcc, v[8:9], v[10:11]
	s_or_b64 s[26:27], vcc, s[26:27]
	v_pk_mov_b32 v[10:11], v[8:9], v[8:9] op_sel:[0,1]
	s_andn2_b64 exec, exec, s[26:27]
	s_cbranch_execnz .LBB5_376
.LBB5_377:                              ;   in Loop: Header=BB5_310 Depth=2
	s_or_b64 exec, exec, s[24:25]
	global_load_dwordx2 v[8:9], v35, s[2:3] offset:16
	s_mov_b64 s[26:27], exec
	v_mbcnt_lo_u32_b32 v2, s26, 0
	v_mbcnt_hi_u32_b32 v2, s27, v2
	v_cmp_eq_u32_e32 vcc, 0, v2
	s_and_saveexec_b64 s[24:25], vcc
	s_cbranch_execz .LBB5_379
; %bb.378:                              ;   in Loop: Header=BB5_310 Depth=2
	s_bcnt1_i32_b64 s26, s[26:27]
	v_mov_b32_e32 v2, s26
	buffer_wbl2
	s_waitcnt vmcnt(0)
	global_atomic_add_x2 v[8:9], v[2:3], off offset:8
.LBB5_379:                              ;   in Loop: Header=BB5_310 Depth=2
	s_or_b64 exec, exec, s[24:25]
	s_waitcnt vmcnt(0)
	global_load_dwordx2 v[10:11], v[8:9], off offset:16
	s_waitcnt vmcnt(0)
	v_cmp_eq_u64_e32 vcc, 0, v[10:11]
	s_cbranch_vccnz .LBB5_381
; %bb.380:                              ;   in Loop: Header=BB5_310 Depth=2
	global_load_dword v34, v[8:9], off offset:24
	s_waitcnt vmcnt(0)
	v_and_b32_e32 v2, 0xffffff, v34
	v_readfirstlane_b32 m0, v2
	buffer_wbl2
	global_store_dwordx2 v[10:11], v[34:35], off
	s_sendmsg sendmsg(MSG_INTERRUPT)
.LBB5_381:                              ;   in Loop: Header=BB5_310 Depth=2
	s_or_b64 exec, exec, s[22:23]
	v_add_co_u32_e32 v4, vcc, v4, v49
	v_addc_co_u32_e32 v5, vcc, 0, v1, vcc
	s_branch .LBB5_385
.LBB5_382:                              ;   in Loop: Header=BB5_385 Depth=3
	s_or_b64 exec, exec, s[22:23]
	v_readfirstlane_b32 s22, v1
	s_cmp_eq_u32 s22, 0
	s_cbranch_scc1 .LBB5_384
; %bb.383:                              ;   in Loop: Header=BB5_385 Depth=3
	s_sleep 1
	s_cbranch_execnz .LBB5_385
	s_branch .LBB5_387
.LBB5_384:                              ;   in Loop: Header=BB5_310 Depth=2
	s_branch .LBB5_387
.LBB5_385:                              ;   Parent Loop BB5_3 Depth=1
                                        ;     Parent Loop BB5_310 Depth=2
                                        ; =>    This Inner Loop Header: Depth=3
	v_mov_b32_e32 v1, 1
	s_and_saveexec_b64 s[22:23], s[0:1]
	s_cbranch_execz .LBB5_382
; %bb.386:                              ;   in Loop: Header=BB5_385 Depth=3
	global_load_dword v1, v[40:41], off offset:20 glc
	s_waitcnt vmcnt(0)
	buffer_invl2
	buffer_wbinvl1_vol
	v_and_b32_e32 v1, 1, v1
	s_branch .LBB5_382
.LBB5_387:                              ;   in Loop: Header=BB5_310 Depth=2
	global_load_dwordx4 v[8:11], v[4:5], off
	s_and_saveexec_b64 s[22:23], s[0:1]
	s_cbranch_execz .LBB5_309
; %bb.388:                              ;   in Loop: Header=BB5_310 Depth=2
	global_load_dwordx2 v[4:5], v35, s[2:3] offset:40
	global_load_dwordx2 v[10:11], v35, s[2:3] offset:24 glc
	global_load_dwordx2 v[18:19], v35, s[2:3]
	v_mov_b32_e32 v1, s21
	s_waitcnt vmcnt(2)
	v_add_co_u32_e32 v2, vcc, 1, v4
	v_addc_co_u32_e32 v17, vcc, 0, v5, vcc
	v_add_co_u32_e32 v14, vcc, s20, v2
	v_addc_co_u32_e32 v15, vcc, v17, v1, vcc
	v_cmp_eq_u64_e32 vcc, 0, v[14:15]
	v_cndmask_b32_e32 v15, v15, v17, vcc
	v_cndmask_b32_e32 v14, v14, v2, vcc
	v_and_b32_e32 v1, v15, v5
	v_and_b32_e32 v2, v14, v4
	v_mul_lo_u32 v1, v1, 24
	v_mul_hi_u32 v4, v2, 24
	v_mul_lo_u32 v2, v2, 24
	v_add_u32_e32 v1, v4, v1
	s_waitcnt vmcnt(0)
	v_add_co_u32_e32 v4, vcc, v18, v2
	v_addc_co_u32_e32 v5, vcc, v19, v1, vcc
	v_mov_b32_e32 v16, v10
	global_store_dwordx2 v[4:5], v[10:11], off
	v_mov_b32_e32 v17, v11
	buffer_wbl2
	s_waitcnt vmcnt(0)
	global_atomic_cmpswap_x2 v[16:17], v35, v[14:17], s[2:3] offset:24 glc
	s_waitcnt vmcnt(0)
	v_cmp_ne_u64_e32 vcc, v[16:17], v[10:11]
	s_and_b64 exec, exec, vcc
	s_cbranch_execz .LBB5_309
; %bb.389:                              ;   in Loop: Header=BB5_310 Depth=2
	s_mov_b64 s[0:1], 0
.LBB5_390:                              ;   Parent Loop BB5_3 Depth=1
                                        ;     Parent Loop BB5_310 Depth=2
                                        ; =>    This Inner Loop Header: Depth=3
	s_sleep 1
	global_store_dwordx2 v[4:5], v[16:17], off
	buffer_wbl2
	s_waitcnt vmcnt(0)
	global_atomic_cmpswap_x2 v[10:11], v35, v[14:17], s[2:3] offset:24 glc
	s_waitcnt vmcnt(0)
	v_cmp_eq_u64_e32 vcc, v[10:11], v[16:17]
	s_or_b64 s[0:1], vcc, s[0:1]
	v_pk_mov_b32 v[16:17], v[10:11], v[10:11] op_sel:[0,1]
	s_andn2_b64 exec, exec, s[0:1]
	s_cbranch_execnz .LBB5_390
	s_branch .LBB5_309
.LBB5_391:                              ;   in Loop: Header=BB5_3 Depth=1
.LBB5_392:                              ;   in Loop: Header=BB5_3 Depth=1
	s_and_b64 vcc, exec, s[12:13]
	s_cbranch_vccz .LBB5_505
.LBB5_393:                              ;   in Loop: Header=BB5_3 Depth=1
	s_waitcnt vmcnt(0)
	v_and_b32_e32 v38, 2, v8
	v_and_b32_e32 v10, -3, v8
	v_mov_b32_e32 v11, v9
	s_mov_b64 s[16:17], 45
	s_getpc_b64 s[14:15]
	s_add_u32 s14, s14, .str.6@rel32@lo+4
	s_addc_u32 s15, s15, .str.6@rel32@hi+12
	s_branch .LBB5_395
.LBB5_394:                              ;   in Loop: Header=BB5_395 Depth=2
	s_or_b64 exec, exec, s[22:23]
	s_sub_u32 s16, s16, s18
	s_subb_u32 s17, s17, s19
	s_add_u32 s14, s14, s18
	s_addc_u32 s15, s15, s19
	s_cmp_lg_u64 s[16:17], 0
	s_cbranch_scc0 .LBB5_476
.LBB5_395:                              ;   Parent Loop BB5_3 Depth=1
                                        ; =>  This Loop Header: Depth=2
                                        ;       Child Loop BB5_398 Depth 3
                                        ;       Child Loop BB5_405 Depth 3
	;; [unrolled: 1-line block ×11, first 2 shown]
	v_cmp_lt_u64_e64 s[0:1], s[16:17], 56
	s_and_b64 s[0:1], s[0:1], exec
	v_cmp_gt_u64_e64 s[0:1], s[16:17], 7
	s_cselect_b32 s19, s17, 0
	s_cselect_b32 s18, s16, 56
	s_and_b64 vcc, exec, s[0:1]
	s_cbranch_vccnz .LBB5_400
; %bb.396:                              ;   in Loop: Header=BB5_395 Depth=2
	s_mov_b64 s[0:1], 0
	s_cmp_eq_u64 s[16:17], 0
	s_waitcnt vmcnt(0)
	v_pk_mov_b32 v[12:13], 0, 0
	s_cbranch_scc1 .LBB5_399
; %bb.397:                              ;   in Loop: Header=BB5_395 Depth=2
	s_lshl_b64 s[20:21], s[18:19], 3
	s_mov_b64 s[22:23], 0
	v_pk_mov_b32 v[12:13], 0, 0
	s_mov_b64 s[24:25], s[14:15]
.LBB5_398:                              ;   Parent Loop BB5_3 Depth=1
                                        ;     Parent Loop BB5_395 Depth=2
                                        ; =>    This Inner Loop Header: Depth=3
	global_load_ubyte v1, v35, s[24:25]
	s_waitcnt vmcnt(0)
	v_and_b32_e32 v34, 0xffff, v1
	v_lshlrev_b64 v[4:5], s22, v[34:35]
	s_add_u32 s22, s22, 8
	s_addc_u32 s23, s23, 0
	s_add_u32 s24, s24, 1
	s_addc_u32 s25, s25, 0
	v_or_b32_e32 v12, v4, v12
	s_cmp_lg_u32 s20, s22
	v_or_b32_e32 v13, v5, v13
	s_cbranch_scc1 .LBB5_398
.LBB5_399:                              ;   in Loop: Header=BB5_395 Depth=2
	s_mov_b32 s24, 0
	s_andn2_b64 vcc, exec, s[0:1]
	s_mov_b64 s[0:1], s[14:15]
	s_cbranch_vccz .LBB5_401
	s_branch .LBB5_402
.LBB5_400:                              ;   in Loop: Header=BB5_395 Depth=2
                                        ; implicit-def: $vgpr12_vgpr13
                                        ; implicit-def: $sgpr24
	s_mov_b64 s[0:1], s[14:15]
.LBB5_401:                              ;   in Loop: Header=BB5_395 Depth=2
	global_load_dwordx2 v[12:13], v35, s[14:15]
	s_add_i32 s24, s18, -8
	s_add_u32 s0, s14, 8
	s_addc_u32 s1, s15, 0
.LBB5_402:                              ;   in Loop: Header=BB5_395 Depth=2
	s_cmp_gt_u32 s24, 7
	s_cbranch_scc1 .LBB5_406
; %bb.403:                              ;   in Loop: Header=BB5_395 Depth=2
	s_cmp_eq_u32 s24, 0
	s_cbranch_scc1 .LBB5_407
; %bb.404:                              ;   in Loop: Header=BB5_395 Depth=2
	s_mov_b64 s[20:21], 0
	v_pk_mov_b32 v[14:15], 0, 0
	s_mov_b64 s[22:23], 0
.LBB5_405:                              ;   Parent Loop BB5_3 Depth=1
                                        ;     Parent Loop BB5_395 Depth=2
                                        ; =>    This Inner Loop Header: Depth=3
	s_add_u32 s26, s0, s22
	s_addc_u32 s27, s1, s23
	global_load_ubyte v1, v35, s[26:27]
	s_add_u32 s22, s22, 1
	s_addc_u32 s23, s23, 0
	s_waitcnt vmcnt(0)
	v_and_b32_e32 v34, 0xffff, v1
	v_lshlrev_b64 v[4:5], s20, v[34:35]
	s_add_u32 s20, s20, 8
	s_addc_u32 s21, s21, 0
	v_or_b32_e32 v14, v4, v14
	s_cmp_lg_u32 s24, s22
	v_or_b32_e32 v15, v5, v15
	s_cbranch_scc1 .LBB5_405
	s_branch .LBB5_408
.LBB5_406:                              ;   in Loop: Header=BB5_395 Depth=2
                                        ; implicit-def: $vgpr14_vgpr15
                                        ; implicit-def: $sgpr25
	s_branch .LBB5_409
.LBB5_407:                              ;   in Loop: Header=BB5_395 Depth=2
	v_pk_mov_b32 v[14:15], 0, 0
.LBB5_408:                              ;   in Loop: Header=BB5_395 Depth=2
	s_mov_b32 s25, 0
	s_cbranch_execnz .LBB5_410
.LBB5_409:                              ;   in Loop: Header=BB5_395 Depth=2
	global_load_dwordx2 v[14:15], v35, s[0:1]
	s_add_i32 s25, s24, -8
	s_add_u32 s0, s0, 8
	s_addc_u32 s1, s1, 0
.LBB5_410:                              ;   in Loop: Header=BB5_395 Depth=2
	s_cmp_gt_u32 s25, 7
	s_cbranch_scc1 .LBB5_414
; %bb.411:                              ;   in Loop: Header=BB5_395 Depth=2
	s_cmp_eq_u32 s25, 0
	s_cbranch_scc1 .LBB5_415
; %bb.412:                              ;   in Loop: Header=BB5_395 Depth=2
	s_mov_b64 s[20:21], 0
	v_pk_mov_b32 v[16:17], 0, 0
	s_mov_b64 s[22:23], 0
.LBB5_413:                              ;   Parent Loop BB5_3 Depth=1
                                        ;     Parent Loop BB5_395 Depth=2
                                        ; =>    This Inner Loop Header: Depth=3
	s_add_u32 s26, s0, s22
	s_addc_u32 s27, s1, s23
	global_load_ubyte v1, v35, s[26:27]
	s_add_u32 s22, s22, 1
	s_addc_u32 s23, s23, 0
	s_waitcnt vmcnt(0)
	v_and_b32_e32 v34, 0xffff, v1
	v_lshlrev_b64 v[4:5], s20, v[34:35]
	s_add_u32 s20, s20, 8
	s_addc_u32 s21, s21, 0
	v_or_b32_e32 v16, v4, v16
	s_cmp_lg_u32 s25, s22
	v_or_b32_e32 v17, v5, v17
	s_cbranch_scc1 .LBB5_413
	s_branch .LBB5_416
.LBB5_414:                              ;   in Loop: Header=BB5_395 Depth=2
                                        ; implicit-def: $sgpr24
	s_branch .LBB5_417
.LBB5_415:                              ;   in Loop: Header=BB5_395 Depth=2
	v_pk_mov_b32 v[16:17], 0, 0
.LBB5_416:                              ;   in Loop: Header=BB5_395 Depth=2
	s_mov_b32 s24, 0
	s_cbranch_execnz .LBB5_418
.LBB5_417:                              ;   in Loop: Header=BB5_395 Depth=2
	global_load_dwordx2 v[16:17], v35, s[0:1]
	s_add_i32 s24, s25, -8
	s_add_u32 s0, s0, 8
	s_addc_u32 s1, s1, 0
.LBB5_418:                              ;   in Loop: Header=BB5_395 Depth=2
	s_cmp_gt_u32 s24, 7
	s_cbranch_scc1 .LBB5_422
; %bb.419:                              ;   in Loop: Header=BB5_395 Depth=2
	s_cmp_eq_u32 s24, 0
	s_cbranch_scc1 .LBB5_423
; %bb.420:                              ;   in Loop: Header=BB5_395 Depth=2
	s_mov_b64 s[20:21], 0
	v_pk_mov_b32 v[18:19], 0, 0
	s_mov_b64 s[22:23], 0
.LBB5_421:                              ;   Parent Loop BB5_3 Depth=1
                                        ;     Parent Loop BB5_395 Depth=2
                                        ; =>    This Inner Loop Header: Depth=3
	s_add_u32 s26, s0, s22
	s_addc_u32 s27, s1, s23
	global_load_ubyte v1, v35, s[26:27]
	s_add_u32 s22, s22, 1
	s_addc_u32 s23, s23, 0
	s_waitcnt vmcnt(0)
	v_and_b32_e32 v34, 0xffff, v1
	v_lshlrev_b64 v[4:5], s20, v[34:35]
	s_add_u32 s20, s20, 8
	s_addc_u32 s21, s21, 0
	v_or_b32_e32 v18, v4, v18
	s_cmp_lg_u32 s24, s22
	v_or_b32_e32 v19, v5, v19
	s_cbranch_scc1 .LBB5_421
	s_branch .LBB5_424
.LBB5_422:                              ;   in Loop: Header=BB5_395 Depth=2
                                        ; implicit-def: $vgpr18_vgpr19
                                        ; implicit-def: $sgpr25
	s_branch .LBB5_425
.LBB5_423:                              ;   in Loop: Header=BB5_395 Depth=2
	v_pk_mov_b32 v[18:19], 0, 0
.LBB5_424:                              ;   in Loop: Header=BB5_395 Depth=2
	s_mov_b32 s25, 0
	s_cbranch_execnz .LBB5_426
.LBB5_425:                              ;   in Loop: Header=BB5_395 Depth=2
	global_load_dwordx2 v[18:19], v35, s[0:1]
	s_add_i32 s25, s24, -8
	s_add_u32 s0, s0, 8
	s_addc_u32 s1, s1, 0
.LBB5_426:                              ;   in Loop: Header=BB5_395 Depth=2
	s_cmp_gt_u32 s25, 7
	s_cbranch_scc1 .LBB5_430
; %bb.427:                              ;   in Loop: Header=BB5_395 Depth=2
	s_cmp_eq_u32 s25, 0
	s_cbranch_scc1 .LBB5_431
; %bb.428:                              ;   in Loop: Header=BB5_395 Depth=2
	s_mov_b64 s[20:21], 0
	v_pk_mov_b32 v[20:21], 0, 0
	s_mov_b64 s[22:23], 0
.LBB5_429:                              ;   Parent Loop BB5_3 Depth=1
                                        ;     Parent Loop BB5_395 Depth=2
                                        ; =>    This Inner Loop Header: Depth=3
	s_add_u32 s26, s0, s22
	s_addc_u32 s27, s1, s23
	global_load_ubyte v1, v35, s[26:27]
	s_add_u32 s22, s22, 1
	s_addc_u32 s23, s23, 0
	s_waitcnt vmcnt(0)
	v_and_b32_e32 v34, 0xffff, v1
	v_lshlrev_b64 v[4:5], s20, v[34:35]
	s_add_u32 s20, s20, 8
	s_addc_u32 s21, s21, 0
	v_or_b32_e32 v20, v4, v20
	s_cmp_lg_u32 s25, s22
	v_or_b32_e32 v21, v5, v21
	s_cbranch_scc1 .LBB5_429
	s_branch .LBB5_432
.LBB5_430:                              ;   in Loop: Header=BB5_395 Depth=2
                                        ; implicit-def: $sgpr24
	s_branch .LBB5_433
.LBB5_431:                              ;   in Loop: Header=BB5_395 Depth=2
	v_pk_mov_b32 v[20:21], 0, 0
.LBB5_432:                              ;   in Loop: Header=BB5_395 Depth=2
	s_mov_b32 s24, 0
	s_cbranch_execnz .LBB5_434
.LBB5_433:                              ;   in Loop: Header=BB5_395 Depth=2
	global_load_dwordx2 v[20:21], v35, s[0:1]
	s_add_i32 s24, s25, -8
	s_add_u32 s0, s0, 8
	s_addc_u32 s1, s1, 0
.LBB5_434:                              ;   in Loop: Header=BB5_395 Depth=2
	s_cmp_gt_u32 s24, 7
	s_cbranch_scc1 .LBB5_438
; %bb.435:                              ;   in Loop: Header=BB5_395 Depth=2
	s_cmp_eq_u32 s24, 0
	s_cbranch_scc1 .LBB5_439
; %bb.436:                              ;   in Loop: Header=BB5_395 Depth=2
	s_mov_b64 s[20:21], 0
	v_pk_mov_b32 v[22:23], 0, 0
	s_mov_b64 s[22:23], 0
.LBB5_437:                              ;   Parent Loop BB5_3 Depth=1
                                        ;     Parent Loop BB5_395 Depth=2
                                        ; =>    This Inner Loop Header: Depth=3
	s_add_u32 s26, s0, s22
	s_addc_u32 s27, s1, s23
	global_load_ubyte v1, v35, s[26:27]
	s_add_u32 s22, s22, 1
	s_addc_u32 s23, s23, 0
	s_waitcnt vmcnt(0)
	v_and_b32_e32 v34, 0xffff, v1
	v_lshlrev_b64 v[4:5], s20, v[34:35]
	s_add_u32 s20, s20, 8
	s_addc_u32 s21, s21, 0
	v_or_b32_e32 v22, v4, v22
	s_cmp_lg_u32 s24, s22
	v_or_b32_e32 v23, v5, v23
	s_cbranch_scc1 .LBB5_437
	s_branch .LBB5_440
.LBB5_438:                              ;   in Loop: Header=BB5_395 Depth=2
                                        ; implicit-def: $vgpr22_vgpr23
                                        ; implicit-def: $sgpr25
	s_branch .LBB5_441
.LBB5_439:                              ;   in Loop: Header=BB5_395 Depth=2
	v_pk_mov_b32 v[22:23], 0, 0
.LBB5_440:                              ;   in Loop: Header=BB5_395 Depth=2
	s_mov_b32 s25, 0
	s_cbranch_execnz .LBB5_442
.LBB5_441:                              ;   in Loop: Header=BB5_395 Depth=2
	global_load_dwordx2 v[22:23], v35, s[0:1]
	s_add_i32 s25, s24, -8
	s_add_u32 s0, s0, 8
	s_addc_u32 s1, s1, 0
.LBB5_442:                              ;   in Loop: Header=BB5_395 Depth=2
	s_cmp_gt_u32 s25, 7
	s_cbranch_scc1 .LBB5_446
; %bb.443:                              ;   in Loop: Header=BB5_395 Depth=2
	s_cmp_eq_u32 s25, 0
	s_cbranch_scc1 .LBB5_447
; %bb.444:                              ;   in Loop: Header=BB5_395 Depth=2
	s_mov_b64 s[20:21], 0
	v_pk_mov_b32 v[24:25], 0, 0
	s_mov_b64 s[22:23], s[0:1]
.LBB5_445:                              ;   Parent Loop BB5_3 Depth=1
                                        ;     Parent Loop BB5_395 Depth=2
                                        ; =>    This Inner Loop Header: Depth=3
	global_load_ubyte v1, v35, s[22:23]
	s_add_i32 s25, s25, -1
	s_waitcnt vmcnt(0)
	v_and_b32_e32 v34, 0xffff, v1
	v_lshlrev_b64 v[4:5], s20, v[34:35]
	s_add_u32 s20, s20, 8
	s_addc_u32 s21, s21, 0
	s_add_u32 s22, s22, 1
	s_addc_u32 s23, s23, 0
	v_or_b32_e32 v24, v4, v24
	s_cmp_lg_u32 s25, 0
	v_or_b32_e32 v25, v5, v25
	s_cbranch_scc1 .LBB5_445
	s_branch .LBB5_448
.LBB5_446:                              ;   in Loop: Header=BB5_395 Depth=2
	s_branch .LBB5_449
.LBB5_447:                              ;   in Loop: Header=BB5_395 Depth=2
	v_pk_mov_b32 v[24:25], 0, 0
.LBB5_448:                              ;   in Loop: Header=BB5_395 Depth=2
	s_cbranch_execnz .LBB5_450
.LBB5_449:                              ;   in Loop: Header=BB5_395 Depth=2
	global_load_dwordx2 v[24:25], v35, s[0:1]
.LBB5_450:                              ;   in Loop: Header=BB5_395 Depth=2
	v_readfirstlane_b32 s0, v32
	v_cmp_eq_u32_e64 s[0:1], s0, v32
	v_pk_mov_b32 v[4:5], 0, 0
	s_and_saveexec_b64 s[20:21], s[0:1]
	s_cbranch_execz .LBB5_456
; %bb.451:                              ;   in Loop: Header=BB5_395 Depth=2
	global_load_dwordx2 v[28:29], v35, s[2:3] offset:24 glc
	s_waitcnt vmcnt(0)
	buffer_invl2
	buffer_wbinvl1_vol
	global_load_dwordx2 v[4:5], v35, s[2:3] offset:40
	global_load_dwordx2 v[26:27], v35, s[2:3]
	s_waitcnt vmcnt(1)
	v_and_b32_e32 v1, v4, v28
	v_and_b32_e32 v2, v5, v29
	v_mul_lo_u32 v2, v2, 24
	v_mul_hi_u32 v4, v1, 24
	v_mul_lo_u32 v1, v1, 24
	v_add_u32_e32 v2, v4, v2
	s_waitcnt vmcnt(0)
	v_add_co_u32_e32 v4, vcc, v26, v1
	v_addc_co_u32_e32 v5, vcc, v27, v2, vcc
	global_load_dwordx2 v[26:27], v[4:5], off glc
	s_waitcnt vmcnt(0)
	global_atomic_cmpswap_x2 v[4:5], v35, v[26:29], s[2:3] offset:24 glc
	s_waitcnt vmcnt(0)
	buffer_invl2
	buffer_wbinvl1_vol
	v_cmp_ne_u64_e32 vcc, v[4:5], v[28:29]
	s_and_saveexec_b64 s[22:23], vcc
	s_cbranch_execz .LBB5_455
; %bb.452:                              ;   in Loop: Header=BB5_395 Depth=2
	s_mov_b64 s[24:25], 0
.LBB5_453:                              ;   Parent Loop BB5_3 Depth=1
                                        ;     Parent Loop BB5_395 Depth=2
                                        ; =>    This Inner Loop Header: Depth=3
	s_sleep 1
	global_load_dwordx2 v[26:27], v35, s[2:3] offset:40
	global_load_dwordx2 v[40:41], v35, s[2:3]
	v_pk_mov_b32 v[28:29], v[4:5], v[4:5] op_sel:[0,1]
	s_waitcnt vmcnt(1)
	v_and_b32_e32 v2, v26, v28
	s_waitcnt vmcnt(0)
	v_mad_u64_u32 v[4:5], s[26:27], v2, 24, v[40:41]
	v_and_b32_e32 v1, v27, v29
	v_mov_b32_e32 v2, v5
	v_mad_u64_u32 v[26:27], s[26:27], v1, 24, v[2:3]
	v_mov_b32_e32 v5, v26
	global_load_dwordx2 v[26:27], v[4:5], off glc
	s_waitcnt vmcnt(0)
	global_atomic_cmpswap_x2 v[4:5], v35, v[26:29], s[2:3] offset:24 glc
	s_waitcnt vmcnt(0)
	buffer_invl2
	buffer_wbinvl1_vol
	v_cmp_eq_u64_e32 vcc, v[4:5], v[28:29]
	s_or_b64 s[24:25], vcc, s[24:25]
	s_andn2_b64 exec, exec, s[24:25]
	s_cbranch_execnz .LBB5_453
; %bb.454:                              ;   in Loop: Header=BB5_395 Depth=2
	s_or_b64 exec, exec, s[24:25]
.LBB5_455:                              ;   in Loop: Header=BB5_395 Depth=2
	s_or_b64 exec, exec, s[22:23]
.LBB5_456:                              ;   in Loop: Header=BB5_395 Depth=2
	s_or_b64 exec, exec, s[20:21]
	global_load_dwordx2 v[40:41], v35, s[2:3] offset:40
	global_load_dwordx4 v[26:29], v35, s[2:3]
	v_readfirstlane_b32 s20, v4
	v_readfirstlane_b32 s21, v5
	s_mov_b64 s[22:23], exec
	s_waitcnt vmcnt(1)
	v_readfirstlane_b32 s24, v40
	v_readfirstlane_b32 s25, v41
	s_and_b64 s[24:25], s[20:21], s[24:25]
	s_mul_i32 s26, s25, 24
	s_mul_hi_u32 s27, s24, 24
	s_mul_i32 s33, s24, 24
	s_add_i32 s26, s27, s26
	v_mov_b32_e32 v1, s26
	s_waitcnt vmcnt(0)
	v_add_co_u32_e32 v40, vcc, s33, v26
	v_addc_co_u32_e32 v41, vcc, v27, v1, vcc
	s_and_saveexec_b64 s[26:27], s[0:1]
	s_cbranch_execz .LBB5_458
; %bb.457:                              ;   in Loop: Header=BB5_395 Depth=2
	v_pk_mov_b32 v[4:5], s[22:23], s[22:23] op_sel:[0,1]
	global_store_dwordx4 v[40:41], v[4:7], off offset:8
.LBB5_458:                              ;   in Loop: Header=BB5_395 Depth=2
	s_or_b64 exec, exec, s[26:27]
	s_lshl_b64 s[22:23], s[24:25], 12
	v_mov_b32_e32 v1, s23
	v_add_co_u32_e32 v4, vcc, s22, v28
	v_addc_co_u32_e32 v1, vcc, v29, v1, vcc
	v_or_b32_e32 v2, 0, v11
	v_or_b32_e32 v5, v10, v38
	v_cmp_gt_u64_e64 vcc, s[16:17], 56
	s_lshl_b32 s22, s18, 2
	v_cndmask_b32_e32 v11, v2, v11, vcc
	v_cndmask_b32_e32 v2, v5, v10, vcc
	s_add_i32 s22, s22, 28
	s_and_b32 s22, s22, 0x1e0
	v_and_b32_e32 v2, 0xffffff1f, v2
	v_or_b32_e32 v10, s22, v2
	v_readfirstlane_b32 s22, v4
	v_readfirstlane_b32 s23, v1
	s_nop 4
	global_store_dwordx4 v49, v[10:13], s[22:23]
	global_store_dwordx4 v49, v[14:17], s[22:23] offset:16
	global_store_dwordx4 v49, v[18:21], s[22:23] offset:32
	;; [unrolled: 1-line block ×3, first 2 shown]
	s_and_saveexec_b64 s[22:23], s[0:1]
	s_cbranch_execz .LBB5_466
; %bb.459:                              ;   in Loop: Header=BB5_395 Depth=2
	global_load_dwordx2 v[18:19], v35, s[2:3] offset:32 glc
	global_load_dwordx2 v[10:11], v35, s[2:3] offset:40
	v_mov_b32_e32 v16, s20
	v_mov_b32_e32 v17, s21
	s_waitcnt vmcnt(0)
	v_readfirstlane_b32 s24, v10
	v_readfirstlane_b32 s25, v11
	s_and_b64 s[24:25], s[24:25], s[20:21]
	s_mul_i32 s25, s25, 24
	s_mul_hi_u32 s26, s24, 24
	s_mul_i32 s24, s24, 24
	s_add_i32 s25, s26, s25
	v_mov_b32_e32 v2, s25
	v_add_co_u32_e32 v14, vcc, s24, v26
	v_addc_co_u32_e32 v15, vcc, v27, v2, vcc
	global_store_dwordx2 v[14:15], v[18:19], off
	buffer_wbl2
	s_waitcnt vmcnt(0)
	global_atomic_cmpswap_x2 v[12:13], v35, v[16:19], s[2:3] offset:32 glc
	s_waitcnt vmcnt(0)
	v_cmp_ne_u64_e32 vcc, v[12:13], v[18:19]
	s_and_saveexec_b64 s[24:25], vcc
	s_cbranch_execz .LBB5_462
; %bb.460:                              ;   in Loop: Header=BB5_395 Depth=2
	s_mov_b64 s[26:27], 0
.LBB5_461:                              ;   Parent Loop BB5_3 Depth=1
                                        ;     Parent Loop BB5_395 Depth=2
                                        ; =>    This Inner Loop Header: Depth=3
	s_sleep 1
	global_store_dwordx2 v[14:15], v[12:13], off
	v_mov_b32_e32 v10, s20
	v_mov_b32_e32 v11, s21
	buffer_wbl2
	s_waitcnt vmcnt(0)
	global_atomic_cmpswap_x2 v[10:11], v35, v[10:13], s[2:3] offset:32 glc
	s_waitcnt vmcnt(0)
	v_cmp_eq_u64_e32 vcc, v[10:11], v[12:13]
	s_or_b64 s[26:27], vcc, s[26:27]
	v_pk_mov_b32 v[12:13], v[10:11], v[10:11] op_sel:[0,1]
	s_andn2_b64 exec, exec, s[26:27]
	s_cbranch_execnz .LBB5_461
.LBB5_462:                              ;   in Loop: Header=BB5_395 Depth=2
	s_or_b64 exec, exec, s[24:25]
	global_load_dwordx2 v[10:11], v35, s[2:3] offset:16
	s_mov_b64 s[26:27], exec
	v_mbcnt_lo_u32_b32 v2, s26, 0
	v_mbcnt_hi_u32_b32 v2, s27, v2
	v_cmp_eq_u32_e32 vcc, 0, v2
	s_and_saveexec_b64 s[24:25], vcc
	s_cbranch_execz .LBB5_464
; %bb.463:                              ;   in Loop: Header=BB5_395 Depth=2
	s_bcnt1_i32_b64 s26, s[26:27]
	v_mov_b32_e32 v2, s26
	buffer_wbl2
	s_waitcnt vmcnt(0)
	global_atomic_add_x2 v[10:11], v[2:3], off offset:8
.LBB5_464:                              ;   in Loop: Header=BB5_395 Depth=2
	s_or_b64 exec, exec, s[24:25]
	s_waitcnt vmcnt(0)
	global_load_dwordx2 v[12:13], v[10:11], off offset:16
	s_waitcnt vmcnt(0)
	v_cmp_eq_u64_e32 vcc, 0, v[12:13]
	s_cbranch_vccnz .LBB5_466
; %bb.465:                              ;   in Loop: Header=BB5_395 Depth=2
	global_load_dword v34, v[10:11], off offset:24
	s_waitcnt vmcnt(0)
	v_and_b32_e32 v2, 0xffffff, v34
	v_readfirstlane_b32 m0, v2
	buffer_wbl2
	global_store_dwordx2 v[12:13], v[34:35], off
	s_sendmsg sendmsg(MSG_INTERRUPT)
.LBB5_466:                              ;   in Loop: Header=BB5_395 Depth=2
	s_or_b64 exec, exec, s[22:23]
	v_add_co_u32_e32 v4, vcc, v4, v49
	v_addc_co_u32_e32 v5, vcc, 0, v1, vcc
	s_branch .LBB5_470
.LBB5_467:                              ;   in Loop: Header=BB5_470 Depth=3
	s_or_b64 exec, exec, s[22:23]
	v_readfirstlane_b32 s22, v1
	s_cmp_eq_u32 s22, 0
	s_cbranch_scc1 .LBB5_469
; %bb.468:                              ;   in Loop: Header=BB5_470 Depth=3
	s_sleep 1
	s_cbranch_execnz .LBB5_470
	s_branch .LBB5_472
.LBB5_469:                              ;   in Loop: Header=BB5_395 Depth=2
	s_branch .LBB5_472
.LBB5_470:                              ;   Parent Loop BB5_3 Depth=1
                                        ;     Parent Loop BB5_395 Depth=2
                                        ; =>    This Inner Loop Header: Depth=3
	v_mov_b32_e32 v1, 1
	s_and_saveexec_b64 s[22:23], s[0:1]
	s_cbranch_execz .LBB5_467
; %bb.471:                              ;   in Loop: Header=BB5_470 Depth=3
	global_load_dword v1, v[40:41], off offset:20 glc
	s_waitcnt vmcnt(0)
	buffer_invl2
	buffer_wbinvl1_vol
	v_and_b32_e32 v1, 1, v1
	s_branch .LBB5_467
.LBB5_472:                              ;   in Loop: Header=BB5_395 Depth=2
	global_load_dwordx4 v[10:13], v[4:5], off
	s_and_saveexec_b64 s[22:23], s[0:1]
	s_cbranch_execz .LBB5_394
; %bb.473:                              ;   in Loop: Header=BB5_395 Depth=2
	global_load_dwordx2 v[4:5], v35, s[2:3] offset:40
	global_load_dwordx2 v[16:17], v35, s[2:3] offset:24 glc
	global_load_dwordx2 v[18:19], v35, s[2:3]
	v_mov_b32_e32 v1, s21
	s_waitcnt vmcnt(2)
	v_add_co_u32_e32 v2, vcc, 1, v4
	v_addc_co_u32_e32 v15, vcc, 0, v5, vcc
	v_add_co_u32_e32 v12, vcc, s20, v2
	v_addc_co_u32_e32 v13, vcc, v15, v1, vcc
	v_cmp_eq_u64_e32 vcc, 0, v[12:13]
	v_cndmask_b32_e32 v13, v13, v15, vcc
	v_cndmask_b32_e32 v12, v12, v2, vcc
	v_and_b32_e32 v1, v13, v5
	v_and_b32_e32 v2, v12, v4
	v_mul_lo_u32 v1, v1, 24
	v_mul_hi_u32 v4, v2, 24
	v_mul_lo_u32 v2, v2, 24
	v_add_u32_e32 v1, v4, v1
	s_waitcnt vmcnt(0)
	v_add_co_u32_e32 v4, vcc, v18, v2
	v_addc_co_u32_e32 v5, vcc, v19, v1, vcc
	v_mov_b32_e32 v14, v16
	global_store_dwordx2 v[4:5], v[16:17], off
	v_mov_b32_e32 v15, v17
	buffer_wbl2
	s_waitcnt vmcnt(0)
	global_atomic_cmpswap_x2 v[14:15], v35, v[12:15], s[2:3] offset:24 glc
	s_waitcnt vmcnt(0)
	v_cmp_ne_u64_e32 vcc, v[14:15], v[16:17]
	s_and_b64 exec, exec, vcc
	s_cbranch_execz .LBB5_394
; %bb.474:                              ;   in Loop: Header=BB5_395 Depth=2
	s_mov_b64 s[0:1], 0
.LBB5_475:                              ;   Parent Loop BB5_3 Depth=1
                                        ;     Parent Loop BB5_395 Depth=2
                                        ; =>    This Inner Loop Header: Depth=3
	s_sleep 1
	global_store_dwordx2 v[4:5], v[14:15], off
	buffer_wbl2
	s_waitcnt vmcnt(0)
	global_atomic_cmpswap_x2 v[16:17], v35, v[12:15], s[2:3] offset:24 glc
	s_waitcnt vmcnt(0)
	v_cmp_eq_u64_e32 vcc, v[16:17], v[14:15]
	s_or_b64 s[0:1], vcc, s[0:1]
	v_pk_mov_b32 v[14:15], v[16:17], v[16:17] op_sel:[0,1]
	s_andn2_b64 exec, exec, s[0:1]
	s_cbranch_execnz .LBB5_475
	s_branch .LBB5_394
.LBB5_476:                              ;   in Loop: Header=BB5_3 Depth=1
	s_branch .LBB5_533
.LBB5_477:                              ;   in Loop: Header=BB5_3 Depth=1
                                        ; implicit-def: $vgpr8_vgpr9
	s_cbranch_execz .LBB5_392
; %bb.478:                              ;   in Loop: Header=BB5_3 Depth=1
	v_readfirstlane_b32 s0, v32
	v_cmp_eq_u32_e64 s[0:1], s0, v32
	v_pk_mov_b32 v[4:5], 0, 0
	s_and_saveexec_b64 s[14:15], s[0:1]
	s_cbranch_execz .LBB5_484
; %bb.479:                              ;   in Loop: Header=BB5_3 Depth=1
	global_load_dwordx2 v[10:11], v35, s[2:3] offset:24 glc
	s_waitcnt vmcnt(0)
	buffer_invl2
	buffer_wbinvl1_vol
	global_load_dwordx2 v[4:5], v35, s[2:3] offset:40
	global_load_dwordx2 v[8:9], v35, s[2:3]
	s_waitcnt vmcnt(1)
	v_and_b32_e32 v1, v4, v10
	v_and_b32_e32 v2, v5, v11
	v_mul_lo_u32 v2, v2, 24
	v_mul_hi_u32 v4, v1, 24
	v_mul_lo_u32 v1, v1, 24
	v_add_u32_e32 v2, v4, v2
	s_waitcnt vmcnt(0)
	v_add_co_u32_e32 v4, vcc, v8, v1
	v_addc_co_u32_e32 v5, vcc, v9, v2, vcc
	global_load_dwordx2 v[8:9], v[4:5], off glc
	s_waitcnt vmcnt(0)
	global_atomic_cmpswap_x2 v[4:5], v35, v[8:11], s[2:3] offset:24 glc
	s_waitcnt vmcnt(0)
	buffer_invl2
	buffer_wbinvl1_vol
	v_cmp_ne_u64_e32 vcc, v[4:5], v[10:11]
	s_and_saveexec_b64 s[16:17], vcc
	s_cbranch_execz .LBB5_483
; %bb.480:                              ;   in Loop: Header=BB5_3 Depth=1
	s_mov_b64 s[18:19], 0
.LBB5_481:                              ;   Parent Loop BB5_3 Depth=1
                                        ; =>  This Inner Loop Header: Depth=2
	s_sleep 1
	global_load_dwordx2 v[8:9], v35, s[2:3] offset:40
	global_load_dwordx2 v[14:15], v35, s[2:3]
	v_pk_mov_b32 v[10:11], v[4:5], v[4:5] op_sel:[0,1]
	s_waitcnt vmcnt(1)
	v_and_b32_e32 v2, v8, v10
	s_waitcnt vmcnt(0)
	v_mad_u64_u32 v[4:5], s[20:21], v2, 24, v[14:15]
	v_and_b32_e32 v1, v9, v11
	v_mov_b32_e32 v2, v5
	v_mad_u64_u32 v[8:9], s[20:21], v1, 24, v[2:3]
	v_mov_b32_e32 v5, v8
	global_load_dwordx2 v[8:9], v[4:5], off glc
	s_waitcnt vmcnt(0)
	global_atomic_cmpswap_x2 v[4:5], v35, v[8:11], s[2:3] offset:24 glc
	s_waitcnt vmcnt(0)
	buffer_invl2
	buffer_wbinvl1_vol
	v_cmp_eq_u64_e32 vcc, v[4:5], v[10:11]
	s_or_b64 s[18:19], vcc, s[18:19]
	s_andn2_b64 exec, exec, s[18:19]
	s_cbranch_execnz .LBB5_481
; %bb.482:                              ;   in Loop: Header=BB5_3 Depth=1
	s_or_b64 exec, exec, s[18:19]
.LBB5_483:                              ;   in Loop: Header=BB5_3 Depth=1
	s_or_b64 exec, exec, s[16:17]
.LBB5_484:                              ;   in Loop: Header=BB5_3 Depth=1
	s_or_b64 exec, exec, s[14:15]
	global_load_dwordx2 v[14:15], v35, s[2:3] offset:40
	global_load_dwordx4 v[8:11], v35, s[2:3]
	v_readfirstlane_b32 s14, v4
	v_readfirstlane_b32 s15, v5
	s_mov_b64 s[16:17], exec
	s_waitcnt vmcnt(1)
	v_readfirstlane_b32 s18, v14
	v_readfirstlane_b32 s19, v15
	s_and_b64 s[18:19], s[14:15], s[18:19]
	s_mul_i32 s20, s19, 24
	s_mul_hi_u32 s21, s18, 24
	s_mul_i32 s22, s18, 24
	s_add_i32 s20, s21, s20
	v_mov_b32_e32 v1, s20
	s_waitcnt vmcnt(0)
	v_add_co_u32_e32 v16, vcc, s22, v8
	v_addc_co_u32_e32 v17, vcc, v9, v1, vcc
	s_and_saveexec_b64 s[20:21], s[0:1]
	s_cbranch_execz .LBB5_486
; %bb.485:                              ;   in Loop: Header=BB5_3 Depth=1
	v_pk_mov_b32 v[4:5], s[16:17], s[16:17] op_sel:[0,1]
	global_store_dwordx4 v[16:17], v[4:7], off offset:8
.LBB5_486:                              ;   in Loop: Header=BB5_3 Depth=1
	s_or_b64 exec, exec, s[20:21]
	s_lshl_b64 s[16:17], s[18:19], 12
	v_mov_b32_e32 v1, s17
	v_add_co_u32_e32 v4, vcc, s16, v10
	v_addc_co_u32_e32 v1, vcc, v11, v1, vcc
	v_and_or_b32 v12, v12, s29, 32
	v_mov_b32_e32 v14, v3
	v_mov_b32_e32 v15, v3
	v_readfirstlane_b32 s16, v4
	v_readfirstlane_b32 s17, v1
	s_nop 4
	global_store_dwordx4 v49, v[12:15], s[16:17]
	s_nop 0
	v_pk_mov_b32 v[12:13], s[10:11], s[10:11] op_sel:[0,1]
	v_pk_mov_b32 v[10:11], s[8:9], s[8:9] op_sel:[0,1]
	global_store_dwordx4 v49, v[10:13], s[16:17] offset:16
	global_store_dwordx4 v49, v[10:13], s[16:17] offset:32
	;; [unrolled: 1-line block ×3, first 2 shown]
	s_and_saveexec_b64 s[16:17], s[0:1]
	s_cbranch_execz .LBB5_494
; %bb.487:                              ;   in Loop: Header=BB5_3 Depth=1
	global_load_dwordx2 v[20:21], v35, s[2:3] offset:32 glc
	global_load_dwordx2 v[10:11], v35, s[2:3] offset:40
	v_mov_b32_e32 v18, s14
	v_mov_b32_e32 v19, s15
	s_waitcnt vmcnt(0)
	v_readfirstlane_b32 s18, v10
	v_readfirstlane_b32 s19, v11
	s_and_b64 s[18:19], s[18:19], s[14:15]
	s_mul_i32 s19, s19, 24
	s_mul_hi_u32 s20, s18, 24
	s_mul_i32 s18, s18, 24
	s_add_i32 s19, s20, s19
	v_mov_b32_e32 v2, s19
	v_add_co_u32_e32 v12, vcc, s18, v8
	v_addc_co_u32_e32 v13, vcc, v9, v2, vcc
	global_store_dwordx2 v[12:13], v[20:21], off
	buffer_wbl2
	s_waitcnt vmcnt(0)
	global_atomic_cmpswap_x2 v[10:11], v35, v[18:21], s[2:3] offset:32 glc
	s_waitcnt vmcnt(0)
	v_cmp_ne_u64_e32 vcc, v[10:11], v[20:21]
	s_and_saveexec_b64 s[18:19], vcc
	s_cbranch_execz .LBB5_490
; %bb.488:                              ;   in Loop: Header=BB5_3 Depth=1
	s_mov_b64 s[20:21], 0
.LBB5_489:                              ;   Parent Loop BB5_3 Depth=1
                                        ; =>  This Inner Loop Header: Depth=2
	s_sleep 1
	global_store_dwordx2 v[12:13], v[10:11], off
	v_mov_b32_e32 v8, s14
	v_mov_b32_e32 v9, s15
	buffer_wbl2
	s_waitcnt vmcnt(0)
	global_atomic_cmpswap_x2 v[8:9], v35, v[8:11], s[2:3] offset:32 glc
	s_waitcnt vmcnt(0)
	v_cmp_eq_u64_e32 vcc, v[8:9], v[10:11]
	s_or_b64 s[20:21], vcc, s[20:21]
	v_pk_mov_b32 v[10:11], v[8:9], v[8:9] op_sel:[0,1]
	s_andn2_b64 exec, exec, s[20:21]
	s_cbranch_execnz .LBB5_489
.LBB5_490:                              ;   in Loop: Header=BB5_3 Depth=1
	s_or_b64 exec, exec, s[18:19]
	global_load_dwordx2 v[8:9], v35, s[2:3] offset:16
	s_mov_b64 s[20:21], exec
	v_mbcnt_lo_u32_b32 v2, s20, 0
	v_mbcnt_hi_u32_b32 v2, s21, v2
	v_cmp_eq_u32_e32 vcc, 0, v2
	s_and_saveexec_b64 s[18:19], vcc
	s_cbranch_execz .LBB5_492
; %bb.491:                              ;   in Loop: Header=BB5_3 Depth=1
	s_bcnt1_i32_b64 s20, s[20:21]
	v_mov_b32_e32 v2, s20
	buffer_wbl2
	s_waitcnt vmcnt(0)
	global_atomic_add_x2 v[8:9], v[2:3], off offset:8
.LBB5_492:                              ;   in Loop: Header=BB5_3 Depth=1
	s_or_b64 exec, exec, s[18:19]
	s_waitcnt vmcnt(0)
	global_load_dwordx2 v[10:11], v[8:9], off offset:16
	s_waitcnt vmcnt(0)
	v_cmp_eq_u64_e32 vcc, 0, v[10:11]
	s_cbranch_vccnz .LBB5_494
; %bb.493:                              ;   in Loop: Header=BB5_3 Depth=1
	global_load_dword v34, v[8:9], off offset:24
	s_waitcnt vmcnt(0)
	v_and_b32_e32 v2, 0xffffff, v34
	v_readfirstlane_b32 m0, v2
	buffer_wbl2
	global_store_dwordx2 v[10:11], v[34:35], off
	s_sendmsg sendmsg(MSG_INTERRUPT)
.LBB5_494:                              ;   in Loop: Header=BB5_3 Depth=1
	s_or_b64 exec, exec, s[16:17]
	v_add_co_u32_e32 v4, vcc, v4, v49
	v_addc_co_u32_e32 v5, vcc, 0, v1, vcc
	s_branch .LBB5_498
.LBB5_495:                              ;   in Loop: Header=BB5_498 Depth=2
	s_or_b64 exec, exec, s[16:17]
	v_readfirstlane_b32 s16, v1
	s_cmp_eq_u32 s16, 0
	s_cbranch_scc1 .LBB5_497
; %bb.496:                              ;   in Loop: Header=BB5_498 Depth=2
	s_sleep 1
	s_cbranch_execnz .LBB5_498
	s_branch .LBB5_500
.LBB5_497:                              ;   in Loop: Header=BB5_3 Depth=1
	s_branch .LBB5_500
.LBB5_498:                              ;   Parent Loop BB5_3 Depth=1
                                        ; =>  This Inner Loop Header: Depth=2
	v_mov_b32_e32 v1, 1
	s_and_saveexec_b64 s[16:17], s[0:1]
	s_cbranch_execz .LBB5_495
; %bb.499:                              ;   in Loop: Header=BB5_498 Depth=2
	global_load_dword v1, v[16:17], off offset:20 glc
	s_waitcnt vmcnt(0)
	buffer_invl2
	buffer_wbinvl1_vol
	v_and_b32_e32 v1, 1, v1
	s_branch .LBB5_495
.LBB5_500:                              ;   in Loop: Header=BB5_3 Depth=1
	global_load_dwordx2 v[8:9], v[4:5], off
	s_and_saveexec_b64 s[16:17], s[0:1]
	s_cbranch_execz .LBB5_504
; %bb.501:                              ;   in Loop: Header=BB5_3 Depth=1
	global_load_dwordx2 v[4:5], v35, s[2:3] offset:40
	global_load_dwordx2 v[14:15], v35, s[2:3] offset:24 glc
	global_load_dwordx2 v[16:17], v35, s[2:3]
	v_mov_b32_e32 v1, s15
	s_waitcnt vmcnt(2)
	v_add_co_u32_e32 v2, vcc, 1, v4
	v_addc_co_u32_e32 v13, vcc, 0, v5, vcc
	v_add_co_u32_e32 v10, vcc, s14, v2
	v_addc_co_u32_e32 v11, vcc, v13, v1, vcc
	v_cmp_eq_u64_e32 vcc, 0, v[10:11]
	v_cndmask_b32_e32 v11, v11, v13, vcc
	v_cndmask_b32_e32 v10, v10, v2, vcc
	v_and_b32_e32 v1, v11, v5
	v_and_b32_e32 v2, v10, v4
	v_mul_lo_u32 v1, v1, 24
	v_mul_hi_u32 v4, v2, 24
	v_mul_lo_u32 v2, v2, 24
	v_add_u32_e32 v1, v4, v1
	s_waitcnt vmcnt(0)
	v_add_co_u32_e32 v4, vcc, v16, v2
	v_addc_co_u32_e32 v5, vcc, v17, v1, vcc
	v_mov_b32_e32 v12, v14
	global_store_dwordx2 v[4:5], v[14:15], off
	v_mov_b32_e32 v13, v15
	buffer_wbl2
	s_waitcnt vmcnt(0)
	global_atomic_cmpswap_x2 v[12:13], v35, v[10:13], s[2:3] offset:24 glc
	s_waitcnt vmcnt(0)
	v_cmp_ne_u64_e32 vcc, v[12:13], v[14:15]
	s_and_b64 exec, exec, vcc
	s_cbranch_execz .LBB5_504
; %bb.502:                              ;   in Loop: Header=BB5_3 Depth=1
	s_mov_b64 s[0:1], 0
.LBB5_503:                              ;   Parent Loop BB5_3 Depth=1
                                        ; =>  This Inner Loop Header: Depth=2
	s_sleep 1
	global_store_dwordx2 v[4:5], v[12:13], off
	buffer_wbl2
	s_waitcnt vmcnt(0)
	global_atomic_cmpswap_x2 v[14:15], v35, v[10:13], s[2:3] offset:24 glc
	s_waitcnt vmcnt(0)
	v_cmp_eq_u64_e32 vcc, v[14:15], v[12:13]
	s_or_b64 s[0:1], vcc, s[0:1]
	v_pk_mov_b32 v[12:13], v[14:15], v[14:15] op_sel:[0,1]
	s_andn2_b64 exec, exec, s[0:1]
	s_cbranch_execnz .LBB5_503
.LBB5_504:                              ;   in Loop: Header=BB5_3 Depth=1
	s_or_b64 exec, exec, s[16:17]
	s_and_b64 vcc, exec, s[12:13]
	s_cbranch_vccnz .LBB5_393
.LBB5_505:                              ;   in Loop: Header=BB5_3 Depth=1
                                        ; implicit-def: $vgpr10_vgpr11
	s_cbranch_execz .LBB5_533
; %bb.506:                              ;   in Loop: Header=BB5_3 Depth=1
	v_readfirstlane_b32 s0, v32
	v_cmp_eq_u32_e64 s[0:1], s0, v32
	v_pk_mov_b32 v[4:5], 0, 0
	s_and_saveexec_b64 s[14:15], s[0:1]
	s_cbranch_execz .LBB5_512
; %bb.507:                              ;   in Loop: Header=BB5_3 Depth=1
	global_load_dwordx2 v[12:13], v35, s[2:3] offset:24 glc
	s_waitcnt vmcnt(0)
	buffer_invl2
	buffer_wbinvl1_vol
	global_load_dwordx2 v[4:5], v35, s[2:3] offset:40
	global_load_dwordx2 v[10:11], v35, s[2:3]
	s_waitcnt vmcnt(1)
	v_and_b32_e32 v1, v4, v12
	v_and_b32_e32 v2, v5, v13
	v_mul_lo_u32 v2, v2, 24
	v_mul_hi_u32 v4, v1, 24
	v_mul_lo_u32 v1, v1, 24
	v_add_u32_e32 v2, v4, v2
	s_waitcnt vmcnt(0)
	v_add_co_u32_e32 v4, vcc, v10, v1
	v_addc_co_u32_e32 v5, vcc, v11, v2, vcc
	global_load_dwordx2 v[10:11], v[4:5], off glc
	s_waitcnt vmcnt(0)
	global_atomic_cmpswap_x2 v[4:5], v35, v[10:13], s[2:3] offset:24 glc
	s_waitcnt vmcnt(0)
	buffer_invl2
	buffer_wbinvl1_vol
	v_cmp_ne_u64_e32 vcc, v[4:5], v[12:13]
	s_and_saveexec_b64 s[16:17], vcc
	s_cbranch_execz .LBB5_511
; %bb.508:                              ;   in Loop: Header=BB5_3 Depth=1
	s_mov_b64 s[18:19], 0
.LBB5_509:                              ;   Parent Loop BB5_3 Depth=1
                                        ; =>  This Inner Loop Header: Depth=2
	s_sleep 1
	global_load_dwordx2 v[10:11], v35, s[2:3] offset:40
	global_load_dwordx2 v[14:15], v35, s[2:3]
	v_pk_mov_b32 v[12:13], v[4:5], v[4:5] op_sel:[0,1]
	s_waitcnt vmcnt(1)
	v_and_b32_e32 v2, v10, v12
	s_waitcnt vmcnt(0)
	v_mad_u64_u32 v[4:5], s[20:21], v2, 24, v[14:15]
	v_and_b32_e32 v1, v11, v13
	v_mov_b32_e32 v2, v5
	v_mad_u64_u32 v[10:11], s[20:21], v1, 24, v[2:3]
	v_mov_b32_e32 v5, v10
	global_load_dwordx2 v[10:11], v[4:5], off glc
	s_waitcnt vmcnt(0)
	global_atomic_cmpswap_x2 v[4:5], v35, v[10:13], s[2:3] offset:24 glc
	s_waitcnt vmcnt(0)
	buffer_invl2
	buffer_wbinvl1_vol
	v_cmp_eq_u64_e32 vcc, v[4:5], v[12:13]
	s_or_b64 s[18:19], vcc, s[18:19]
	s_andn2_b64 exec, exec, s[18:19]
	s_cbranch_execnz .LBB5_509
; %bb.510:                              ;   in Loop: Header=BB5_3 Depth=1
	s_or_b64 exec, exec, s[18:19]
.LBB5_511:                              ;   in Loop: Header=BB5_3 Depth=1
	s_or_b64 exec, exec, s[16:17]
.LBB5_512:                              ;   in Loop: Header=BB5_3 Depth=1
	s_or_b64 exec, exec, s[14:15]
	global_load_dwordx2 v[10:11], v35, s[2:3] offset:40
	global_load_dwordx4 v[12:15], v35, s[2:3]
	v_readfirstlane_b32 s14, v4
	v_readfirstlane_b32 s15, v5
	s_mov_b64 s[16:17], exec
	s_waitcnt vmcnt(1)
	v_readfirstlane_b32 s18, v10
	v_readfirstlane_b32 s19, v11
	s_and_b64 s[18:19], s[14:15], s[18:19]
	s_mul_i32 s20, s19, 24
	s_mul_hi_u32 s21, s18, 24
	s_mul_i32 s22, s18, 24
	s_add_i32 s20, s21, s20
	v_mov_b32_e32 v1, s20
	s_waitcnt vmcnt(0)
	v_add_co_u32_e32 v16, vcc, s22, v12
	v_addc_co_u32_e32 v17, vcc, v13, v1, vcc
	s_and_saveexec_b64 s[20:21], s[0:1]
	s_cbranch_execz .LBB5_514
; %bb.513:                              ;   in Loop: Header=BB5_3 Depth=1
	v_pk_mov_b32 v[4:5], s[16:17], s[16:17] op_sel:[0,1]
	global_store_dwordx4 v[16:17], v[4:7], off offset:8
.LBB5_514:                              ;   in Loop: Header=BB5_3 Depth=1
	s_or_b64 exec, exec, s[20:21]
	s_lshl_b64 s[16:17], s[18:19], 12
	v_mov_b32_e32 v1, s17
	v_add_co_u32_e32 v4, vcc, s16, v14
	v_addc_co_u32_e32 v1, vcc, v15, v1, vcc
	v_and_or_b32 v8, v8, s29, 32
	v_mov_b32_e32 v10, v3
	v_mov_b32_e32 v11, v3
	v_readfirstlane_b32 s16, v4
	v_readfirstlane_b32 s17, v1
	s_nop 4
	global_store_dwordx4 v49, v[8:11], s[16:17]
	s_nop 0
	v_pk_mov_b32 v[8:9], s[8:9], s[8:9] op_sel:[0,1]
	v_pk_mov_b32 v[10:11], s[10:11], s[10:11] op_sel:[0,1]
	global_store_dwordx4 v49, v[8:11], s[16:17] offset:16
	global_store_dwordx4 v49, v[8:11], s[16:17] offset:32
	;; [unrolled: 1-line block ×3, first 2 shown]
	s_and_saveexec_b64 s[16:17], s[0:1]
	s_cbranch_execz .LBB5_522
; %bb.515:                              ;   in Loop: Header=BB5_3 Depth=1
	global_load_dwordx2 v[20:21], v35, s[2:3] offset:32 glc
	global_load_dwordx2 v[8:9], v35, s[2:3] offset:40
	v_mov_b32_e32 v18, s14
	v_mov_b32_e32 v19, s15
	s_waitcnt vmcnt(0)
	v_readfirstlane_b32 s18, v8
	v_readfirstlane_b32 s19, v9
	s_and_b64 s[18:19], s[18:19], s[14:15]
	s_mul_i32 s19, s19, 24
	s_mul_hi_u32 s20, s18, 24
	s_mul_i32 s18, s18, 24
	s_add_i32 s19, s20, s19
	v_mov_b32_e32 v2, s19
	v_add_co_u32_e32 v12, vcc, s18, v12
	v_addc_co_u32_e32 v13, vcc, v13, v2, vcc
	global_store_dwordx2 v[12:13], v[20:21], off
	buffer_wbl2
	s_waitcnt vmcnt(0)
	global_atomic_cmpswap_x2 v[10:11], v35, v[18:21], s[2:3] offset:32 glc
	s_waitcnt vmcnt(0)
	v_cmp_ne_u64_e32 vcc, v[10:11], v[20:21]
	s_and_saveexec_b64 s[18:19], vcc
	s_cbranch_execz .LBB5_518
; %bb.516:                              ;   in Loop: Header=BB5_3 Depth=1
	s_mov_b64 s[20:21], 0
.LBB5_517:                              ;   Parent Loop BB5_3 Depth=1
                                        ; =>  This Inner Loop Header: Depth=2
	s_sleep 1
	global_store_dwordx2 v[12:13], v[10:11], off
	v_mov_b32_e32 v8, s14
	v_mov_b32_e32 v9, s15
	buffer_wbl2
	s_waitcnt vmcnt(0)
	global_atomic_cmpswap_x2 v[8:9], v35, v[8:11], s[2:3] offset:32 glc
	s_waitcnt vmcnt(0)
	v_cmp_eq_u64_e32 vcc, v[8:9], v[10:11]
	s_or_b64 s[20:21], vcc, s[20:21]
	v_pk_mov_b32 v[10:11], v[8:9], v[8:9] op_sel:[0,1]
	s_andn2_b64 exec, exec, s[20:21]
	s_cbranch_execnz .LBB5_517
.LBB5_518:                              ;   in Loop: Header=BB5_3 Depth=1
	s_or_b64 exec, exec, s[18:19]
	global_load_dwordx2 v[8:9], v35, s[2:3] offset:16
	s_mov_b64 s[20:21], exec
	v_mbcnt_lo_u32_b32 v2, s20, 0
	v_mbcnt_hi_u32_b32 v2, s21, v2
	v_cmp_eq_u32_e32 vcc, 0, v2
	s_and_saveexec_b64 s[18:19], vcc
	s_cbranch_execz .LBB5_520
; %bb.519:                              ;   in Loop: Header=BB5_3 Depth=1
	s_bcnt1_i32_b64 s20, s[20:21]
	v_mov_b32_e32 v2, s20
	buffer_wbl2
	s_waitcnt vmcnt(0)
	global_atomic_add_x2 v[8:9], v[2:3], off offset:8
.LBB5_520:                              ;   in Loop: Header=BB5_3 Depth=1
	s_or_b64 exec, exec, s[18:19]
	s_waitcnt vmcnt(0)
	global_load_dwordx2 v[10:11], v[8:9], off offset:16
	s_waitcnt vmcnt(0)
	v_cmp_eq_u64_e32 vcc, 0, v[10:11]
	s_cbranch_vccnz .LBB5_522
; %bb.521:                              ;   in Loop: Header=BB5_3 Depth=1
	global_load_dword v34, v[8:9], off offset:24
	s_waitcnt vmcnt(0)
	v_and_b32_e32 v2, 0xffffff, v34
	v_readfirstlane_b32 m0, v2
	buffer_wbl2
	global_store_dwordx2 v[10:11], v[34:35], off
	s_sendmsg sendmsg(MSG_INTERRUPT)
.LBB5_522:                              ;   in Loop: Header=BB5_3 Depth=1
	s_or_b64 exec, exec, s[16:17]
	v_add_co_u32_e32 v4, vcc, v4, v49
	v_addc_co_u32_e32 v5, vcc, 0, v1, vcc
	s_branch .LBB5_526
.LBB5_523:                              ;   in Loop: Header=BB5_526 Depth=2
	s_or_b64 exec, exec, s[16:17]
	v_readfirstlane_b32 s16, v1
	s_cmp_eq_u32 s16, 0
	s_cbranch_scc1 .LBB5_525
; %bb.524:                              ;   in Loop: Header=BB5_526 Depth=2
	s_sleep 1
	s_cbranch_execnz .LBB5_526
	s_branch .LBB5_528
.LBB5_525:                              ;   in Loop: Header=BB5_3 Depth=1
	s_branch .LBB5_528
.LBB5_526:                              ;   Parent Loop BB5_3 Depth=1
                                        ; =>  This Inner Loop Header: Depth=2
	v_mov_b32_e32 v1, 1
	s_and_saveexec_b64 s[16:17], s[0:1]
	s_cbranch_execz .LBB5_523
; %bb.527:                              ;   in Loop: Header=BB5_526 Depth=2
	global_load_dword v1, v[16:17], off offset:20 glc
	s_waitcnt vmcnt(0)
	buffer_invl2
	buffer_wbinvl1_vol
	v_and_b32_e32 v1, 1, v1
	s_branch .LBB5_523
.LBB5_528:                              ;   in Loop: Header=BB5_3 Depth=1
	global_load_dwordx2 v[10:11], v[4:5], off
	s_and_saveexec_b64 s[16:17], s[0:1]
	s_cbranch_execz .LBB5_532
; %bb.529:                              ;   in Loop: Header=BB5_3 Depth=1
	global_load_dwordx2 v[4:5], v35, s[2:3] offset:40
	global_load_dwordx2 v[8:9], v35, s[2:3] offset:24 glc
	global_load_dwordx2 v[16:17], v35, s[2:3]
	v_mov_b32_e32 v1, s15
	s_waitcnt vmcnt(2)
	v_add_co_u32_e32 v2, vcc, 1, v4
	v_addc_co_u32_e32 v15, vcc, 0, v5, vcc
	v_add_co_u32_e32 v12, vcc, s14, v2
	v_addc_co_u32_e32 v13, vcc, v15, v1, vcc
	v_cmp_eq_u64_e32 vcc, 0, v[12:13]
	v_cndmask_b32_e32 v13, v13, v15, vcc
	v_cndmask_b32_e32 v12, v12, v2, vcc
	v_and_b32_e32 v1, v13, v5
	v_and_b32_e32 v2, v12, v4
	v_mul_lo_u32 v1, v1, 24
	v_mul_hi_u32 v4, v2, 24
	v_mul_lo_u32 v2, v2, 24
	v_add_u32_e32 v1, v4, v1
	s_waitcnt vmcnt(0)
	v_add_co_u32_e32 v4, vcc, v16, v2
	v_addc_co_u32_e32 v5, vcc, v17, v1, vcc
	v_mov_b32_e32 v14, v8
	global_store_dwordx2 v[4:5], v[8:9], off
	v_mov_b32_e32 v15, v9
	buffer_wbl2
	s_waitcnt vmcnt(0)
	global_atomic_cmpswap_x2 v[14:15], v35, v[12:15], s[2:3] offset:24 glc
	s_waitcnt vmcnt(0)
	v_cmp_ne_u64_e32 vcc, v[14:15], v[8:9]
	s_and_b64 exec, exec, vcc
	s_cbranch_execz .LBB5_532
; %bb.530:                              ;   in Loop: Header=BB5_3 Depth=1
	s_mov_b64 s[0:1], 0
.LBB5_531:                              ;   Parent Loop BB5_3 Depth=1
                                        ; =>  This Inner Loop Header: Depth=2
	s_sleep 1
	global_store_dwordx2 v[4:5], v[14:15], off
	buffer_wbl2
	s_waitcnt vmcnt(0)
	global_atomic_cmpswap_x2 v[8:9], v35, v[12:15], s[2:3] offset:24 glc
	s_waitcnt vmcnt(0)
	v_cmp_eq_u64_e32 vcc, v[8:9], v[14:15]
	s_or_b64 s[0:1], vcc, s[0:1]
	v_pk_mov_b32 v[14:15], v[8:9], v[8:9] op_sel:[0,1]
	s_andn2_b64 exec, exec, s[0:1]
	s_cbranch_execnz .LBB5_531
.LBB5_532:                              ;   in Loop: Header=BB5_3 Depth=1
	s_or_b64 exec, exec, s[16:17]
.LBB5_533:                              ;   in Loop: Header=BB5_3 Depth=1
	v_readfirstlane_b32 s0, v32
	v_cmp_eq_u32_e64 s[0:1], s0, v32
	v_pk_mov_b32 v[4:5], 0, 0
	s_and_saveexec_b64 s[14:15], s[0:1]
	s_cbranch_execz .LBB5_539
; %bb.534:                              ;   in Loop: Header=BB5_3 Depth=1
	global_load_dwordx2 v[14:15], v35, s[2:3] offset:24 glc
	s_waitcnt vmcnt(0)
	buffer_invl2
	buffer_wbinvl1_vol
	global_load_dwordx2 v[4:5], v35, s[2:3] offset:40
	global_load_dwordx2 v[8:9], v35, s[2:3]
	s_waitcnt vmcnt(1)
	v_and_b32_e32 v1, v4, v14
	v_and_b32_e32 v2, v5, v15
	v_mul_lo_u32 v2, v2, 24
	v_mul_hi_u32 v4, v1, 24
	v_mul_lo_u32 v1, v1, 24
	v_add_u32_e32 v2, v4, v2
	s_waitcnt vmcnt(0)
	v_add_co_u32_e32 v4, vcc, v8, v1
	v_addc_co_u32_e32 v5, vcc, v9, v2, vcc
	global_load_dwordx2 v[12:13], v[4:5], off glc
	s_waitcnt vmcnt(0)
	global_atomic_cmpswap_x2 v[4:5], v35, v[12:15], s[2:3] offset:24 glc
	s_waitcnt vmcnt(0)
	buffer_invl2
	buffer_wbinvl1_vol
	v_cmp_ne_u64_e32 vcc, v[4:5], v[14:15]
	s_and_saveexec_b64 s[16:17], vcc
	s_cbranch_execz .LBB5_538
; %bb.535:                              ;   in Loop: Header=BB5_3 Depth=1
	s_mov_b64 s[18:19], 0
.LBB5_536:                              ;   Parent Loop BB5_3 Depth=1
                                        ; =>  This Inner Loop Header: Depth=2
	s_sleep 1
	global_load_dwordx2 v[8:9], v35, s[2:3] offset:40
	global_load_dwordx2 v[12:13], v35, s[2:3]
	v_pk_mov_b32 v[14:15], v[4:5], v[4:5] op_sel:[0,1]
	s_waitcnt vmcnt(1)
	v_and_b32_e32 v2, v8, v14
	s_waitcnt vmcnt(0)
	v_mad_u64_u32 v[4:5], s[20:21], v2, 24, v[12:13]
	v_and_b32_e32 v1, v9, v15
	v_mov_b32_e32 v2, v5
	v_mad_u64_u32 v[8:9], s[20:21], v1, 24, v[2:3]
	v_mov_b32_e32 v5, v8
	global_load_dwordx2 v[12:13], v[4:5], off glc
	s_waitcnt vmcnt(0)
	global_atomic_cmpswap_x2 v[4:5], v35, v[12:15], s[2:3] offset:24 glc
	s_waitcnt vmcnt(0)
	buffer_invl2
	buffer_wbinvl1_vol
	v_cmp_eq_u64_e32 vcc, v[4:5], v[14:15]
	s_or_b64 s[18:19], vcc, s[18:19]
	s_andn2_b64 exec, exec, s[18:19]
	s_cbranch_execnz .LBB5_536
; %bb.537:                              ;   in Loop: Header=BB5_3 Depth=1
	s_or_b64 exec, exec, s[18:19]
.LBB5_538:                              ;   in Loop: Header=BB5_3 Depth=1
	s_or_b64 exec, exec, s[16:17]
.LBB5_539:                              ;   in Loop: Header=BB5_3 Depth=1
	s_or_b64 exec, exec, s[14:15]
	global_load_dwordx2 v[8:9], v35, s[2:3] offset:40
	global_load_dwordx4 v[14:17], v35, s[2:3]
	v_readfirstlane_b32 s14, v4
	v_readfirstlane_b32 s15, v5
	s_mov_b64 s[16:17], exec
	s_waitcnt vmcnt(1)
	v_readfirstlane_b32 s18, v8
	v_readfirstlane_b32 s19, v9
	s_and_b64 s[18:19], s[14:15], s[18:19]
	s_mul_i32 s20, s19, 24
	s_mul_hi_u32 s21, s18, 24
	s_mul_i32 s22, s18, 24
	s_add_i32 s20, s21, s20
	v_mov_b32_e32 v1, s20
	s_waitcnt vmcnt(0)
	v_add_co_u32_e32 v18, vcc, s22, v14
	v_addc_co_u32_e32 v19, vcc, v15, v1, vcc
	s_and_saveexec_b64 s[20:21], s[0:1]
	s_cbranch_execz .LBB5_541
; %bb.540:                              ;   in Loop: Header=BB5_3 Depth=1
	v_pk_mov_b32 v[4:5], s[16:17], s[16:17] op_sel:[0,1]
	global_store_dwordx4 v[18:19], v[4:7], off offset:8
.LBB5_541:                              ;   in Loop: Header=BB5_3 Depth=1
	s_or_b64 exec, exec, s[20:21]
	s_lshl_b64 s[16:17], s[18:19], 12
	v_mov_b32_e32 v1, s17
	v_add_co_u32_e32 v4, vcc, s16, v16
	v_addc_co_u32_e32 v1, vcc, v17, v1, vcc
	v_and_or_b32 v10, v10, s30, 34
	v_mov_b32_e32 v12, v37
	v_mov_b32_e32 v13, v3
	v_readfirstlane_b32 s16, v4
	v_readfirstlane_b32 s17, v1
	s_nop 4
	global_store_dwordx4 v49, v[10:13], s[16:17]
	v_pk_mov_b32 v[8:9], s[8:9], s[8:9] op_sel:[0,1]
	v_pk_mov_b32 v[10:11], s[10:11], s[10:11] op_sel:[0,1]
	global_store_dwordx4 v49, v[8:11], s[16:17] offset:16
	global_store_dwordx4 v49, v[8:11], s[16:17] offset:32
	;; [unrolled: 1-line block ×3, first 2 shown]
	s_and_saveexec_b64 s[16:17], s[0:1]
	s_cbranch_execz .LBB5_549
; %bb.542:                              ;   in Loop: Header=BB5_3 Depth=1
	global_load_dwordx2 v[22:23], v35, s[2:3] offset:32 glc
	global_load_dwordx2 v[8:9], v35, s[2:3] offset:40
	v_mov_b32_e32 v20, s14
	v_mov_b32_e32 v21, s15
	s_waitcnt vmcnt(0)
	v_readfirstlane_b32 s18, v8
	v_readfirstlane_b32 s19, v9
	s_and_b64 s[18:19], s[18:19], s[14:15]
	s_mul_i32 s19, s19, 24
	s_mul_hi_u32 s20, s18, 24
	s_mul_i32 s18, s18, 24
	s_add_i32 s19, s20, s19
	v_mov_b32_e32 v2, s19
	v_add_co_u32_e32 v12, vcc, s18, v14
	v_addc_co_u32_e32 v13, vcc, v15, v2, vcc
	global_store_dwordx2 v[12:13], v[22:23], off
	buffer_wbl2
	s_waitcnt vmcnt(0)
	global_atomic_cmpswap_x2 v[10:11], v35, v[20:23], s[2:3] offset:32 glc
	s_waitcnt vmcnt(0)
	v_cmp_ne_u64_e32 vcc, v[10:11], v[22:23]
	s_and_saveexec_b64 s[18:19], vcc
	s_cbranch_execz .LBB5_545
; %bb.543:                              ;   in Loop: Header=BB5_3 Depth=1
	s_mov_b64 s[20:21], 0
.LBB5_544:                              ;   Parent Loop BB5_3 Depth=1
                                        ; =>  This Inner Loop Header: Depth=2
	s_sleep 1
	global_store_dwordx2 v[12:13], v[10:11], off
	v_mov_b32_e32 v8, s14
	v_mov_b32_e32 v9, s15
	buffer_wbl2
	s_waitcnt vmcnt(0)
	global_atomic_cmpswap_x2 v[8:9], v35, v[8:11], s[2:3] offset:32 glc
	s_waitcnt vmcnt(0)
	v_cmp_eq_u64_e32 vcc, v[8:9], v[10:11]
	s_or_b64 s[20:21], vcc, s[20:21]
	v_pk_mov_b32 v[10:11], v[8:9], v[8:9] op_sel:[0,1]
	s_andn2_b64 exec, exec, s[20:21]
	s_cbranch_execnz .LBB5_544
.LBB5_545:                              ;   in Loop: Header=BB5_3 Depth=1
	s_or_b64 exec, exec, s[18:19]
	global_load_dwordx2 v[8:9], v35, s[2:3] offset:16
	s_mov_b64 s[20:21], exec
	v_mbcnt_lo_u32_b32 v2, s20, 0
	v_mbcnt_hi_u32_b32 v2, s21, v2
	v_cmp_eq_u32_e32 vcc, 0, v2
	s_and_saveexec_b64 s[18:19], vcc
	s_cbranch_execz .LBB5_547
; %bb.546:                              ;   in Loop: Header=BB5_3 Depth=1
	s_bcnt1_i32_b64 s20, s[20:21]
	v_mov_b32_e32 v2, s20
	buffer_wbl2
	s_waitcnt vmcnt(0)
	global_atomic_add_x2 v[8:9], v[2:3], off offset:8
.LBB5_547:                              ;   in Loop: Header=BB5_3 Depth=1
	s_or_b64 exec, exec, s[18:19]
	s_waitcnt vmcnt(0)
	global_load_dwordx2 v[10:11], v[8:9], off offset:16
	s_waitcnt vmcnt(0)
	v_cmp_eq_u64_e32 vcc, 0, v[10:11]
	s_cbranch_vccnz .LBB5_549
; %bb.548:                              ;   in Loop: Header=BB5_3 Depth=1
	global_load_dword v34, v[8:9], off offset:24
	s_waitcnt vmcnt(0)
	v_and_b32_e32 v2, 0xffffff, v34
	v_readfirstlane_b32 m0, v2
	buffer_wbl2
	global_store_dwordx2 v[10:11], v[34:35], off
	s_sendmsg sendmsg(MSG_INTERRUPT)
.LBB5_549:                              ;   in Loop: Header=BB5_3 Depth=1
	s_or_b64 exec, exec, s[16:17]
	v_add_co_u32_e32 v4, vcc, v4, v49
	v_addc_co_u32_e32 v5, vcc, 0, v1, vcc
	s_branch .LBB5_553
.LBB5_550:                              ;   in Loop: Header=BB5_553 Depth=2
	s_or_b64 exec, exec, s[16:17]
	v_readfirstlane_b32 s16, v1
	s_cmp_eq_u32 s16, 0
	s_cbranch_scc1 .LBB5_552
; %bb.551:                              ;   in Loop: Header=BB5_553 Depth=2
	s_sleep 1
	s_cbranch_execnz .LBB5_553
	s_branch .LBB5_555
.LBB5_552:                              ;   in Loop: Header=BB5_3 Depth=1
	s_branch .LBB5_555
.LBB5_553:                              ;   Parent Loop BB5_3 Depth=1
                                        ; =>  This Inner Loop Header: Depth=2
	v_mov_b32_e32 v1, 1
	s_and_saveexec_b64 s[16:17], s[0:1]
	s_cbranch_execz .LBB5_550
; %bb.554:                              ;   in Loop: Header=BB5_553 Depth=2
	global_load_dword v1, v[18:19], off offset:20 glc
	s_waitcnt vmcnt(0)
	buffer_invl2
	buffer_wbinvl1_vol
	v_and_b32_e32 v1, 1, v1
	s_branch .LBB5_550
.LBB5_555:                              ;   in Loop: Header=BB5_3 Depth=1
	global_load_dwordx2 v[38:39], v[4:5], off
	s_and_saveexec_b64 s[16:17], s[0:1]
	s_cbranch_execz .LBB5_559
; %bb.556:                              ;   in Loop: Header=BB5_3 Depth=1
	global_load_dwordx2 v[4:5], v35, s[2:3] offset:40
	global_load_dwordx2 v[12:13], v35, s[2:3] offset:24 glc
	global_load_dwordx2 v[14:15], v35, s[2:3]
	v_mov_b32_e32 v1, s15
	s_waitcnt vmcnt(2)
	v_add_co_u32_e32 v2, vcc, 1, v4
	v_addc_co_u32_e32 v11, vcc, 0, v5, vcc
	v_add_co_u32_e32 v8, vcc, s14, v2
	v_addc_co_u32_e32 v9, vcc, v11, v1, vcc
	v_cmp_eq_u64_e32 vcc, 0, v[8:9]
	v_cndmask_b32_e32 v9, v9, v11, vcc
	v_cndmask_b32_e32 v8, v8, v2, vcc
	v_and_b32_e32 v1, v9, v5
	v_and_b32_e32 v2, v8, v4
	v_mul_lo_u32 v1, v1, 24
	v_mul_hi_u32 v4, v2, 24
	v_mul_lo_u32 v2, v2, 24
	v_add_u32_e32 v1, v4, v1
	s_waitcnt vmcnt(0)
	v_add_co_u32_e32 v4, vcc, v14, v2
	v_addc_co_u32_e32 v5, vcc, v15, v1, vcc
	v_mov_b32_e32 v10, v12
	global_store_dwordx2 v[4:5], v[12:13], off
	v_mov_b32_e32 v11, v13
	buffer_wbl2
	s_waitcnt vmcnt(0)
	global_atomic_cmpswap_x2 v[10:11], v35, v[8:11], s[2:3] offset:24 glc
	s_waitcnt vmcnt(0)
	v_cmp_ne_u64_e32 vcc, v[10:11], v[12:13]
	s_and_b64 exec, exec, vcc
	s_cbranch_execz .LBB5_559
; %bb.557:                              ;   in Loop: Header=BB5_3 Depth=1
	s_mov_b64 s[0:1], 0
.LBB5_558:                              ;   Parent Loop BB5_3 Depth=1
                                        ; =>  This Inner Loop Header: Depth=2
	s_sleep 1
	global_store_dwordx2 v[4:5], v[10:11], off
	buffer_wbl2
	s_waitcnt vmcnt(0)
	global_atomic_cmpswap_x2 v[12:13], v35, v[8:11], s[2:3] offset:24 glc
	s_waitcnt vmcnt(0)
	v_cmp_eq_u64_e32 vcc, v[12:13], v[10:11]
	s_or_b64 s[0:1], vcc, s[0:1]
	v_pk_mov_b32 v[10:11], v[12:13], v[12:13] op_sel:[0,1]
	s_andn2_b64 exec, exec, s[0:1]
	s_cbranch_execnz .LBB5_558
.LBB5_559:                              ;   in Loop: Header=BB5_3 Depth=1
	s_or_b64 exec, exec, s[16:17]
	ds_read_b32 v1, v46
	v_readfirstlane_b32 s0, v32
	v_cmp_eq_u32_e64 s[0:1], s0, v32
	v_pk_mov_b32 v[4:5], 0, 0
	s_waitcnt lgkmcnt(0)
	v_subrev_u32_e32 v37, s31, v1
	ds_write_b32 v47, v37
	s_and_saveexec_b64 s[14:15], s[0:1]
	s_cbranch_execz .LBB5_565
; %bb.560:                              ;   in Loop: Header=BB5_3 Depth=1
	global_load_dwordx2 v[10:11], v35, s[2:3] offset:24 glc
	s_waitcnt vmcnt(0)
	buffer_invl2
	buffer_wbinvl1_vol
	global_load_dwordx2 v[4:5], v35, s[2:3] offset:40
	global_load_dwordx2 v[8:9], v35, s[2:3]
	s_waitcnt vmcnt(1)
	v_and_b32_e32 v1, v4, v10
	v_and_b32_e32 v2, v5, v11
	v_mul_lo_u32 v2, v2, 24
	v_mul_hi_u32 v4, v1, 24
	v_mul_lo_u32 v1, v1, 24
	v_add_u32_e32 v2, v4, v2
	s_waitcnt vmcnt(0)
	v_add_co_u32_e32 v4, vcc, v8, v1
	v_addc_co_u32_e32 v5, vcc, v9, v2, vcc
	global_load_dwordx2 v[8:9], v[4:5], off glc
	s_waitcnt vmcnt(0)
	global_atomic_cmpswap_x2 v[4:5], v35, v[8:11], s[2:3] offset:24 glc
	s_waitcnt vmcnt(0)
	buffer_invl2
	buffer_wbinvl1_vol
	v_cmp_ne_u64_e32 vcc, v[4:5], v[10:11]
	s_and_saveexec_b64 s[16:17], vcc
	s_cbranch_execz .LBB5_564
; %bb.561:                              ;   in Loop: Header=BB5_3 Depth=1
	s_mov_b64 s[18:19], 0
.LBB5_562:                              ;   Parent Loop BB5_3 Depth=1
                                        ; =>  This Inner Loop Header: Depth=2
	s_sleep 1
	global_load_dwordx2 v[8:9], v35, s[2:3] offset:40
	global_load_dwordx2 v[12:13], v35, s[2:3]
	v_pk_mov_b32 v[10:11], v[4:5], v[4:5] op_sel:[0,1]
	s_waitcnt vmcnt(1)
	v_and_b32_e32 v2, v8, v10
	s_waitcnt vmcnt(0)
	v_mad_u64_u32 v[4:5], s[20:21], v2, 24, v[12:13]
	v_and_b32_e32 v1, v9, v11
	v_mov_b32_e32 v2, v5
	v_mad_u64_u32 v[8:9], s[20:21], v1, 24, v[2:3]
	v_mov_b32_e32 v5, v8
	global_load_dwordx2 v[8:9], v[4:5], off glc
	s_waitcnt vmcnt(0)
	global_atomic_cmpswap_x2 v[4:5], v35, v[8:11], s[2:3] offset:24 glc
	s_waitcnt vmcnt(0)
	buffer_invl2
	buffer_wbinvl1_vol
	v_cmp_eq_u64_e32 vcc, v[4:5], v[10:11]
	s_or_b64 s[18:19], vcc, s[18:19]
	s_andn2_b64 exec, exec, s[18:19]
	s_cbranch_execnz .LBB5_562
; %bb.563:                              ;   in Loop: Header=BB5_3 Depth=1
	s_or_b64 exec, exec, s[18:19]
.LBB5_564:                              ;   in Loop: Header=BB5_3 Depth=1
	s_or_b64 exec, exec, s[16:17]
.LBB5_565:                              ;   in Loop: Header=BB5_3 Depth=1
	s_or_b64 exec, exec, s[14:15]
	global_load_dwordx2 v[12:13], v35, s[2:3] offset:40
	global_load_dwordx4 v[8:11], v35, s[2:3]
	v_readfirstlane_b32 s14, v4
	v_readfirstlane_b32 s15, v5
	s_mov_b64 s[16:17], exec
	s_waitcnt vmcnt(1)
	v_readfirstlane_b32 s18, v12
	v_readfirstlane_b32 s19, v13
	s_and_b64 s[18:19], s[14:15], s[18:19]
	s_mul_i32 s20, s19, 24
	s_mul_hi_u32 s21, s18, 24
	s_mul_i32 s22, s18, 24
	s_add_i32 s20, s21, s20
	v_mov_b32_e32 v1, s20
	s_waitcnt vmcnt(0)
	v_add_co_u32_e32 v12, vcc, s22, v8
	v_addc_co_u32_e32 v13, vcc, v9, v1, vcc
	s_and_saveexec_b64 s[20:21], s[0:1]
	s_cbranch_execz .LBB5_567
; %bb.566:                              ;   in Loop: Header=BB5_3 Depth=1
	v_pk_mov_b32 v[4:5], s[16:17], s[16:17] op_sel:[0,1]
	global_store_dwordx4 v[12:13], v[4:7], off offset:8
.LBB5_567:                              ;   in Loop: Header=BB5_3 Depth=1
	s_or_b64 exec, exec, s[20:21]
	s_lshl_b64 s[16:17], s[18:19], 12
	v_mov_b32_e32 v1, s17
	v_add_co_u32_e32 v4, vcc, s16, v10
	v_addc_co_u32_e32 v5, vcc, v11, v1, vcc
	v_pk_mov_b32 v[16:17], s[10:11], s[10:11] op_sel:[0,1]
	v_mov_b32_e32 v1, v3
	v_mov_b32_e32 v2, v3
	v_readfirstlane_b32 s16, v4
	v_readfirstlane_b32 s17, v5
	v_pk_mov_b32 v[14:15], s[8:9], s[8:9] op_sel:[0,1]
	s_nop 3
	global_store_dwordx4 v49, v[0:3], s[16:17]
	global_store_dwordx4 v49, v[14:17], s[16:17] offset:16
	global_store_dwordx4 v49, v[14:17], s[16:17] offset:32
	;; [unrolled: 1-line block ×3, first 2 shown]
	s_and_saveexec_b64 s[16:17], s[0:1]
	s_cbranch_execz .LBB5_575
; %bb.568:                              ;   in Loop: Header=BB5_3 Depth=1
	global_load_dwordx2 v[18:19], v35, s[2:3] offset:32 glc
	global_load_dwordx2 v[10:11], v35, s[2:3] offset:40
	v_mov_b32_e32 v16, s14
	v_mov_b32_e32 v17, s15
	s_waitcnt vmcnt(0)
	v_readfirstlane_b32 s18, v10
	v_readfirstlane_b32 s19, v11
	s_and_b64 s[18:19], s[18:19], s[14:15]
	s_mul_i32 s19, s19, 24
	s_mul_hi_u32 s20, s18, 24
	s_mul_i32 s18, s18, 24
	s_add_i32 s19, s20, s19
	v_mov_b32_e32 v1, s19
	v_add_co_u32_e32 v14, vcc, s18, v8
	v_addc_co_u32_e32 v15, vcc, v9, v1, vcc
	global_store_dwordx2 v[14:15], v[18:19], off
	buffer_wbl2
	s_waitcnt vmcnt(0)
	global_atomic_cmpswap_x2 v[10:11], v35, v[16:19], s[2:3] offset:32 glc
	s_waitcnt vmcnt(0)
	v_cmp_ne_u64_e32 vcc, v[10:11], v[18:19]
	s_and_saveexec_b64 s[18:19], vcc
	s_cbranch_execz .LBB5_571
; %bb.569:                              ;   in Loop: Header=BB5_3 Depth=1
	s_mov_b64 s[20:21], 0
.LBB5_570:                              ;   Parent Loop BB5_3 Depth=1
                                        ; =>  This Inner Loop Header: Depth=2
	s_sleep 1
	global_store_dwordx2 v[14:15], v[10:11], off
	v_mov_b32_e32 v8, s14
	v_mov_b32_e32 v9, s15
	buffer_wbl2
	s_waitcnt vmcnt(0)
	global_atomic_cmpswap_x2 v[8:9], v35, v[8:11], s[2:3] offset:32 glc
	s_waitcnt vmcnt(0)
	v_cmp_eq_u64_e32 vcc, v[8:9], v[10:11]
	s_or_b64 s[20:21], vcc, s[20:21]
	v_pk_mov_b32 v[10:11], v[8:9], v[8:9] op_sel:[0,1]
	s_andn2_b64 exec, exec, s[20:21]
	s_cbranch_execnz .LBB5_570
.LBB5_571:                              ;   in Loop: Header=BB5_3 Depth=1
	s_or_b64 exec, exec, s[18:19]
	global_load_dwordx2 v[8:9], v35, s[2:3] offset:16
	s_mov_b64 s[20:21], exec
	v_mbcnt_lo_u32_b32 v1, s20, 0
	v_mbcnt_hi_u32_b32 v1, s21, v1
	v_cmp_eq_u32_e32 vcc, 0, v1
	s_and_saveexec_b64 s[18:19], vcc
	s_cbranch_execz .LBB5_573
; %bb.572:                              ;   in Loop: Header=BB5_3 Depth=1
	s_bcnt1_i32_b64 s20, s[20:21]
	v_mov_b32_e32 v2, s20
	buffer_wbl2
	s_waitcnt vmcnt(0)
	global_atomic_add_x2 v[8:9], v[2:3], off offset:8
.LBB5_573:                              ;   in Loop: Header=BB5_3 Depth=1
	s_or_b64 exec, exec, s[18:19]
	s_waitcnt vmcnt(0)
	global_load_dwordx2 v[10:11], v[8:9], off offset:16
	s_waitcnt vmcnt(0)
	v_cmp_eq_u64_e32 vcc, 0, v[10:11]
	s_cbranch_vccnz .LBB5_575
; %bb.574:                              ;   in Loop: Header=BB5_3 Depth=1
	global_load_dword v34, v[8:9], off offset:24
	s_waitcnt vmcnt(0)
	v_and_b32_e32 v1, 0xffffff, v34
	v_readfirstlane_b32 m0, v1
	buffer_wbl2
	global_store_dwordx2 v[10:11], v[34:35], off
	s_sendmsg sendmsg(MSG_INTERRUPT)
.LBB5_575:                              ;   in Loop: Header=BB5_3 Depth=1
	s_or_b64 exec, exec, s[16:17]
	v_add_co_u32_e32 v4, vcc, v4, v49
	v_addc_co_u32_e32 v5, vcc, 0, v5, vcc
	s_branch .LBB5_579
.LBB5_576:                              ;   in Loop: Header=BB5_579 Depth=2
	s_or_b64 exec, exec, s[16:17]
	v_readfirstlane_b32 s16, v1
	s_cmp_eq_u32 s16, 0
	s_cbranch_scc1 .LBB5_578
; %bb.577:                              ;   in Loop: Header=BB5_579 Depth=2
	s_sleep 1
	s_cbranch_execnz .LBB5_579
	s_branch .LBB5_581
.LBB5_578:                              ;   in Loop: Header=BB5_3 Depth=1
	s_branch .LBB5_581
.LBB5_579:                              ;   Parent Loop BB5_3 Depth=1
                                        ; =>  This Inner Loop Header: Depth=2
	v_mov_b32_e32 v1, 1
	s_and_saveexec_b64 s[16:17], s[0:1]
	s_cbranch_execz .LBB5_576
; %bb.580:                              ;   in Loop: Header=BB5_579 Depth=2
	global_load_dword v1, v[12:13], off offset:20 glc
	s_waitcnt vmcnt(0)
	buffer_invl2
	buffer_wbinvl1_vol
	v_and_b32_e32 v1, 1, v1
	s_branch .LBB5_576
.LBB5_581:                              ;   in Loop: Header=BB5_3 Depth=1
	global_load_dwordx2 v[12:13], v[4:5], off
	s_and_saveexec_b64 s[16:17], s[0:1]
	s_cbranch_execz .LBB5_585
; %bb.582:                              ;   in Loop: Header=BB5_3 Depth=1
	global_load_dwordx2 v[4:5], v35, s[2:3] offset:40
	global_load_dwordx2 v[14:15], v35, s[2:3] offset:24 glc
	global_load_dwordx2 v[16:17], v35, s[2:3]
	v_mov_b32_e32 v1, s15
	s_waitcnt vmcnt(2)
	v_add_co_u32_e32 v2, vcc, 1, v4
	v_addc_co_u32_e32 v11, vcc, 0, v5, vcc
	v_add_co_u32_e32 v8, vcc, s14, v2
	v_addc_co_u32_e32 v9, vcc, v11, v1, vcc
	v_cmp_eq_u64_e32 vcc, 0, v[8:9]
	v_cndmask_b32_e32 v9, v9, v11, vcc
	v_cndmask_b32_e32 v8, v8, v2, vcc
	v_and_b32_e32 v1, v9, v5
	v_and_b32_e32 v2, v8, v4
	v_mul_lo_u32 v1, v1, 24
	v_mul_hi_u32 v4, v2, 24
	v_mul_lo_u32 v2, v2, 24
	v_add_u32_e32 v1, v4, v1
	s_waitcnt vmcnt(0)
	v_add_co_u32_e32 v4, vcc, v16, v2
	v_addc_co_u32_e32 v5, vcc, v17, v1, vcc
	v_mov_b32_e32 v10, v14
	global_store_dwordx2 v[4:5], v[14:15], off
	v_mov_b32_e32 v11, v15
	buffer_wbl2
	s_waitcnt vmcnt(0)
	global_atomic_cmpswap_x2 v[10:11], v35, v[8:11], s[2:3] offset:24 glc
	s_waitcnt vmcnt(0)
	v_cmp_ne_u64_e32 vcc, v[10:11], v[14:15]
	s_and_b64 exec, exec, vcc
	s_cbranch_execz .LBB5_585
; %bb.583:                              ;   in Loop: Header=BB5_3 Depth=1
	s_mov_b64 s[0:1], 0
.LBB5_584:                              ;   Parent Loop BB5_3 Depth=1
                                        ; =>  This Inner Loop Header: Depth=2
	s_sleep 1
	global_store_dwordx2 v[4:5], v[10:11], off
	buffer_wbl2
	s_waitcnt vmcnt(0)
	global_atomic_cmpswap_x2 v[14:15], v35, v[8:11], s[2:3] offset:24 glc
	s_waitcnt vmcnt(0)
	v_cmp_eq_u64_e32 vcc, v[14:15], v[10:11]
	s_or_b64 s[0:1], vcc, s[0:1]
	v_pk_mov_b32 v[10:11], v[14:15], v[14:15] op_sel:[0,1]
	s_andn2_b64 exec, exec, s[0:1]
	s_cbranch_execnz .LBB5_584
.LBB5_585:                              ;   in Loop: Header=BB5_3 Depth=1
	s_or_b64 exec, exec, s[16:17]
	s_and_b64 vcc, exec, s[4:5]
	s_cbranch_vccz .LBB5_755
; %bb.586:                              ;   in Loop: Header=BB5_3 Depth=1
	s_waitcnt vmcnt(0)
	v_and_b32_e32 v40, 2, v12
	v_and_b32_e32 v8, -3, v12
	v_mov_b32_e32 v9, v13
	s_mov_b64 s[16:17], 6
	s_getpc_b64 s[14:15]
	s_add_u32 s14, s14, .str.7@rel32@lo+4
	s_addc_u32 s15, s15, .str.7@rel32@hi+12
	s_branch .LBB5_588
.LBB5_587:                              ;   in Loop: Header=BB5_588 Depth=2
	s_or_b64 exec, exec, s[22:23]
	s_sub_u32 s16, s16, s18
	s_subb_u32 s17, s17, s19
	s_add_u32 s14, s14, s18
	s_addc_u32 s15, s15, s19
	s_cmp_lg_u64 s[16:17], 0
	s_cbranch_scc0 .LBB5_669
.LBB5_588:                              ;   Parent Loop BB5_3 Depth=1
                                        ; =>  This Loop Header: Depth=2
                                        ;       Child Loop BB5_591 Depth 3
                                        ;       Child Loop BB5_598 Depth 3
	;; [unrolled: 1-line block ×11, first 2 shown]
	v_cmp_lt_u64_e64 s[0:1], s[16:17], 56
	s_and_b64 s[0:1], s[0:1], exec
	v_cmp_gt_u64_e64 s[0:1], s[16:17], 7
	s_cselect_b32 s19, s17, 0
	s_cselect_b32 s18, s16, 56
	s_and_b64 vcc, exec, s[0:1]
	s_cbranch_vccnz .LBB5_593
; %bb.589:                              ;   in Loop: Header=BB5_588 Depth=2
	s_mov_b64 s[0:1], 0
	s_cmp_eq_u64 s[16:17], 0
	s_waitcnt vmcnt(0)
	v_pk_mov_b32 v[10:11], 0, 0
	s_cbranch_scc1 .LBB5_592
; %bb.590:                              ;   in Loop: Header=BB5_588 Depth=2
	s_lshl_b64 s[20:21], s[18:19], 3
	s_mov_b64 s[22:23], 0
	v_pk_mov_b32 v[10:11], 0, 0
	s_mov_b64 s[24:25], s[14:15]
.LBB5_591:                              ;   Parent Loop BB5_3 Depth=1
                                        ;     Parent Loop BB5_588 Depth=2
                                        ; =>    This Inner Loop Header: Depth=3
	global_load_ubyte v1, v35, s[24:25]
	s_waitcnt vmcnt(0)
	v_and_b32_e32 v34, 0xffff, v1
	v_lshlrev_b64 v[4:5], s22, v[34:35]
	s_add_u32 s22, s22, 8
	s_addc_u32 s23, s23, 0
	s_add_u32 s24, s24, 1
	s_addc_u32 s25, s25, 0
	v_or_b32_e32 v10, v4, v10
	s_cmp_lg_u32 s20, s22
	v_or_b32_e32 v11, v5, v11
	s_cbranch_scc1 .LBB5_591
.LBB5_592:                              ;   in Loop: Header=BB5_588 Depth=2
	s_mov_b32 s24, 0
	s_andn2_b64 vcc, exec, s[0:1]
	s_mov_b64 s[0:1], s[14:15]
	s_cbranch_vccz .LBB5_594
	s_branch .LBB5_595
.LBB5_593:                              ;   in Loop: Header=BB5_588 Depth=2
                                        ; implicit-def: $vgpr10_vgpr11
                                        ; implicit-def: $sgpr24
	s_mov_b64 s[0:1], s[14:15]
.LBB5_594:                              ;   in Loop: Header=BB5_588 Depth=2
	global_load_dwordx2 v[10:11], v35, s[14:15]
	s_add_i32 s24, s18, -8
	s_add_u32 s0, s14, 8
	s_addc_u32 s1, s15, 0
.LBB5_595:                              ;   in Loop: Header=BB5_588 Depth=2
	s_cmp_gt_u32 s24, 7
	s_cbranch_scc1 .LBB5_599
; %bb.596:                              ;   in Loop: Header=BB5_588 Depth=2
	s_cmp_eq_u32 s24, 0
	s_cbranch_scc1 .LBB5_600
; %bb.597:                              ;   in Loop: Header=BB5_588 Depth=2
	s_mov_b64 s[20:21], 0
	v_pk_mov_b32 v[14:15], 0, 0
	s_mov_b64 s[22:23], 0
.LBB5_598:                              ;   Parent Loop BB5_3 Depth=1
                                        ;     Parent Loop BB5_588 Depth=2
                                        ; =>    This Inner Loop Header: Depth=3
	s_add_u32 s26, s0, s22
	s_addc_u32 s27, s1, s23
	global_load_ubyte v1, v35, s[26:27]
	s_add_u32 s22, s22, 1
	s_addc_u32 s23, s23, 0
	s_waitcnt vmcnt(0)
	v_and_b32_e32 v34, 0xffff, v1
	v_lshlrev_b64 v[4:5], s20, v[34:35]
	s_add_u32 s20, s20, 8
	s_addc_u32 s21, s21, 0
	v_or_b32_e32 v14, v4, v14
	s_cmp_lg_u32 s24, s22
	v_or_b32_e32 v15, v5, v15
	s_cbranch_scc1 .LBB5_598
	s_branch .LBB5_601
.LBB5_599:                              ;   in Loop: Header=BB5_588 Depth=2
                                        ; implicit-def: $vgpr14_vgpr15
                                        ; implicit-def: $sgpr25
	s_branch .LBB5_602
.LBB5_600:                              ;   in Loop: Header=BB5_588 Depth=2
	v_pk_mov_b32 v[14:15], 0, 0
.LBB5_601:                              ;   in Loop: Header=BB5_588 Depth=2
	s_mov_b32 s25, 0
	s_cbranch_execnz .LBB5_603
.LBB5_602:                              ;   in Loop: Header=BB5_588 Depth=2
	global_load_dwordx2 v[14:15], v35, s[0:1]
	s_add_i32 s25, s24, -8
	s_add_u32 s0, s0, 8
	s_addc_u32 s1, s1, 0
.LBB5_603:                              ;   in Loop: Header=BB5_588 Depth=2
	s_cmp_gt_u32 s25, 7
	s_cbranch_scc1 .LBB5_607
; %bb.604:                              ;   in Loop: Header=BB5_588 Depth=2
	s_cmp_eq_u32 s25, 0
	s_cbranch_scc1 .LBB5_608
; %bb.605:                              ;   in Loop: Header=BB5_588 Depth=2
	s_mov_b64 s[20:21], 0
	v_pk_mov_b32 v[16:17], 0, 0
	s_mov_b64 s[22:23], 0
.LBB5_606:                              ;   Parent Loop BB5_3 Depth=1
                                        ;     Parent Loop BB5_588 Depth=2
                                        ; =>    This Inner Loop Header: Depth=3
	s_add_u32 s26, s0, s22
	s_addc_u32 s27, s1, s23
	global_load_ubyte v1, v35, s[26:27]
	s_add_u32 s22, s22, 1
	s_addc_u32 s23, s23, 0
	s_waitcnt vmcnt(0)
	v_and_b32_e32 v34, 0xffff, v1
	v_lshlrev_b64 v[4:5], s20, v[34:35]
	s_add_u32 s20, s20, 8
	s_addc_u32 s21, s21, 0
	v_or_b32_e32 v16, v4, v16
	s_cmp_lg_u32 s25, s22
	v_or_b32_e32 v17, v5, v17
	s_cbranch_scc1 .LBB5_606
	s_branch .LBB5_609
.LBB5_607:                              ;   in Loop: Header=BB5_588 Depth=2
                                        ; implicit-def: $sgpr24
	s_branch .LBB5_610
.LBB5_608:                              ;   in Loop: Header=BB5_588 Depth=2
	v_pk_mov_b32 v[16:17], 0, 0
.LBB5_609:                              ;   in Loop: Header=BB5_588 Depth=2
	s_mov_b32 s24, 0
	s_cbranch_execnz .LBB5_611
.LBB5_610:                              ;   in Loop: Header=BB5_588 Depth=2
	global_load_dwordx2 v[16:17], v35, s[0:1]
	s_add_i32 s24, s25, -8
	s_add_u32 s0, s0, 8
	s_addc_u32 s1, s1, 0
.LBB5_611:                              ;   in Loop: Header=BB5_588 Depth=2
	s_cmp_gt_u32 s24, 7
	s_cbranch_scc1 .LBB5_615
; %bb.612:                              ;   in Loop: Header=BB5_588 Depth=2
	s_cmp_eq_u32 s24, 0
	s_cbranch_scc1 .LBB5_616
; %bb.613:                              ;   in Loop: Header=BB5_588 Depth=2
	s_mov_b64 s[20:21], 0
	v_pk_mov_b32 v[18:19], 0, 0
	s_mov_b64 s[22:23], 0
.LBB5_614:                              ;   Parent Loop BB5_3 Depth=1
                                        ;     Parent Loop BB5_588 Depth=2
                                        ; =>    This Inner Loop Header: Depth=3
	s_add_u32 s26, s0, s22
	s_addc_u32 s27, s1, s23
	global_load_ubyte v1, v35, s[26:27]
	s_add_u32 s22, s22, 1
	s_addc_u32 s23, s23, 0
	s_waitcnt vmcnt(0)
	v_and_b32_e32 v34, 0xffff, v1
	v_lshlrev_b64 v[4:5], s20, v[34:35]
	s_add_u32 s20, s20, 8
	s_addc_u32 s21, s21, 0
	v_or_b32_e32 v18, v4, v18
	s_cmp_lg_u32 s24, s22
	v_or_b32_e32 v19, v5, v19
	s_cbranch_scc1 .LBB5_614
	s_branch .LBB5_617
.LBB5_615:                              ;   in Loop: Header=BB5_588 Depth=2
                                        ; implicit-def: $vgpr18_vgpr19
                                        ; implicit-def: $sgpr25
	s_branch .LBB5_618
.LBB5_616:                              ;   in Loop: Header=BB5_588 Depth=2
	v_pk_mov_b32 v[18:19], 0, 0
.LBB5_617:                              ;   in Loop: Header=BB5_588 Depth=2
	s_mov_b32 s25, 0
	s_cbranch_execnz .LBB5_619
.LBB5_618:                              ;   in Loop: Header=BB5_588 Depth=2
	global_load_dwordx2 v[18:19], v35, s[0:1]
	s_add_i32 s25, s24, -8
	s_add_u32 s0, s0, 8
	s_addc_u32 s1, s1, 0
.LBB5_619:                              ;   in Loop: Header=BB5_588 Depth=2
	s_cmp_gt_u32 s25, 7
	s_cbranch_scc1 .LBB5_623
; %bb.620:                              ;   in Loop: Header=BB5_588 Depth=2
	s_cmp_eq_u32 s25, 0
	s_cbranch_scc1 .LBB5_624
; %bb.621:                              ;   in Loop: Header=BB5_588 Depth=2
	s_mov_b64 s[20:21], 0
	v_pk_mov_b32 v[20:21], 0, 0
	s_mov_b64 s[22:23], 0
.LBB5_622:                              ;   Parent Loop BB5_3 Depth=1
                                        ;     Parent Loop BB5_588 Depth=2
                                        ; =>    This Inner Loop Header: Depth=3
	s_add_u32 s26, s0, s22
	s_addc_u32 s27, s1, s23
	global_load_ubyte v1, v35, s[26:27]
	s_add_u32 s22, s22, 1
	s_addc_u32 s23, s23, 0
	s_waitcnt vmcnt(0)
	v_and_b32_e32 v34, 0xffff, v1
	v_lshlrev_b64 v[4:5], s20, v[34:35]
	s_add_u32 s20, s20, 8
	s_addc_u32 s21, s21, 0
	v_or_b32_e32 v20, v4, v20
	s_cmp_lg_u32 s25, s22
	v_or_b32_e32 v21, v5, v21
	s_cbranch_scc1 .LBB5_622
	s_branch .LBB5_625
.LBB5_623:                              ;   in Loop: Header=BB5_588 Depth=2
                                        ; implicit-def: $sgpr24
	s_branch .LBB5_626
.LBB5_624:                              ;   in Loop: Header=BB5_588 Depth=2
	v_pk_mov_b32 v[20:21], 0, 0
.LBB5_625:                              ;   in Loop: Header=BB5_588 Depth=2
	s_mov_b32 s24, 0
	s_cbranch_execnz .LBB5_627
.LBB5_626:                              ;   in Loop: Header=BB5_588 Depth=2
	global_load_dwordx2 v[20:21], v35, s[0:1]
	s_add_i32 s24, s25, -8
	s_add_u32 s0, s0, 8
	s_addc_u32 s1, s1, 0
.LBB5_627:                              ;   in Loop: Header=BB5_588 Depth=2
	s_cmp_gt_u32 s24, 7
	s_cbranch_scc1 .LBB5_631
; %bb.628:                              ;   in Loop: Header=BB5_588 Depth=2
	s_cmp_eq_u32 s24, 0
	s_cbranch_scc1 .LBB5_632
; %bb.629:                              ;   in Loop: Header=BB5_588 Depth=2
	s_mov_b64 s[20:21], 0
	v_pk_mov_b32 v[22:23], 0, 0
	s_mov_b64 s[22:23], 0
.LBB5_630:                              ;   Parent Loop BB5_3 Depth=1
                                        ;     Parent Loop BB5_588 Depth=2
                                        ; =>    This Inner Loop Header: Depth=3
	s_add_u32 s26, s0, s22
	s_addc_u32 s27, s1, s23
	global_load_ubyte v1, v35, s[26:27]
	s_add_u32 s22, s22, 1
	s_addc_u32 s23, s23, 0
	s_waitcnt vmcnt(0)
	v_and_b32_e32 v34, 0xffff, v1
	v_lshlrev_b64 v[4:5], s20, v[34:35]
	s_add_u32 s20, s20, 8
	s_addc_u32 s21, s21, 0
	v_or_b32_e32 v22, v4, v22
	s_cmp_lg_u32 s24, s22
	v_or_b32_e32 v23, v5, v23
	s_cbranch_scc1 .LBB5_630
	s_branch .LBB5_633
.LBB5_631:                              ;   in Loop: Header=BB5_588 Depth=2
                                        ; implicit-def: $vgpr22_vgpr23
                                        ; implicit-def: $sgpr25
	s_branch .LBB5_634
.LBB5_632:                              ;   in Loop: Header=BB5_588 Depth=2
	v_pk_mov_b32 v[22:23], 0, 0
.LBB5_633:                              ;   in Loop: Header=BB5_588 Depth=2
	s_mov_b32 s25, 0
	s_cbranch_execnz .LBB5_635
.LBB5_634:                              ;   in Loop: Header=BB5_588 Depth=2
	global_load_dwordx2 v[22:23], v35, s[0:1]
	s_add_i32 s25, s24, -8
	s_add_u32 s0, s0, 8
	s_addc_u32 s1, s1, 0
.LBB5_635:                              ;   in Loop: Header=BB5_588 Depth=2
	s_cmp_gt_u32 s25, 7
	s_cbranch_scc1 .LBB5_639
; %bb.636:                              ;   in Loop: Header=BB5_588 Depth=2
	s_cmp_eq_u32 s25, 0
	s_cbranch_scc1 .LBB5_640
; %bb.637:                              ;   in Loop: Header=BB5_588 Depth=2
	s_mov_b64 s[20:21], 0
	v_pk_mov_b32 v[24:25], 0, 0
	s_mov_b64 s[22:23], s[0:1]
.LBB5_638:                              ;   Parent Loop BB5_3 Depth=1
                                        ;     Parent Loop BB5_588 Depth=2
                                        ; =>    This Inner Loop Header: Depth=3
	global_load_ubyte v1, v35, s[22:23]
	s_add_i32 s25, s25, -1
	s_waitcnt vmcnt(0)
	v_and_b32_e32 v34, 0xffff, v1
	v_lshlrev_b64 v[4:5], s20, v[34:35]
	s_add_u32 s20, s20, 8
	s_addc_u32 s21, s21, 0
	s_add_u32 s22, s22, 1
	s_addc_u32 s23, s23, 0
	v_or_b32_e32 v24, v4, v24
	s_cmp_lg_u32 s25, 0
	v_or_b32_e32 v25, v5, v25
	s_cbranch_scc1 .LBB5_638
	s_branch .LBB5_641
.LBB5_639:                              ;   in Loop: Header=BB5_588 Depth=2
	s_branch .LBB5_642
.LBB5_640:                              ;   in Loop: Header=BB5_588 Depth=2
	v_pk_mov_b32 v[24:25], 0, 0
.LBB5_641:                              ;   in Loop: Header=BB5_588 Depth=2
	s_cbranch_execnz .LBB5_643
.LBB5_642:                              ;   in Loop: Header=BB5_588 Depth=2
	global_load_dwordx2 v[24:25], v35, s[0:1]
.LBB5_643:                              ;   in Loop: Header=BB5_588 Depth=2
	v_readfirstlane_b32 s0, v32
	v_cmp_eq_u32_e64 s[0:1], s0, v32
	v_pk_mov_b32 v[4:5], 0, 0
	s_and_saveexec_b64 s[20:21], s[0:1]
	s_cbranch_execz .LBB5_649
; %bb.644:                              ;   in Loop: Header=BB5_588 Depth=2
	global_load_dwordx2 v[28:29], v35, s[2:3] offset:24 glc
	s_waitcnt vmcnt(0)
	buffer_invl2
	buffer_wbinvl1_vol
	global_load_dwordx2 v[4:5], v35, s[2:3] offset:40
	global_load_dwordx2 v[26:27], v35, s[2:3]
	s_waitcnt vmcnt(1)
	v_and_b32_e32 v1, v4, v28
	v_and_b32_e32 v2, v5, v29
	v_mul_lo_u32 v2, v2, 24
	v_mul_hi_u32 v4, v1, 24
	v_mul_lo_u32 v1, v1, 24
	v_add_u32_e32 v2, v4, v2
	s_waitcnt vmcnt(0)
	v_add_co_u32_e32 v4, vcc, v26, v1
	v_addc_co_u32_e32 v5, vcc, v27, v2, vcc
	global_load_dwordx2 v[26:27], v[4:5], off glc
	s_waitcnt vmcnt(0)
	global_atomic_cmpswap_x2 v[4:5], v35, v[26:29], s[2:3] offset:24 glc
	s_waitcnt vmcnt(0)
	buffer_invl2
	buffer_wbinvl1_vol
	v_cmp_ne_u64_e32 vcc, v[4:5], v[28:29]
	s_and_saveexec_b64 s[22:23], vcc
	s_cbranch_execz .LBB5_648
; %bb.645:                              ;   in Loop: Header=BB5_588 Depth=2
	s_mov_b64 s[24:25], 0
.LBB5_646:                              ;   Parent Loop BB5_3 Depth=1
                                        ;     Parent Loop BB5_588 Depth=2
                                        ; =>    This Inner Loop Header: Depth=3
	s_sleep 1
	global_load_dwordx2 v[26:27], v35, s[2:3] offset:40
	global_load_dwordx2 v[42:43], v35, s[2:3]
	v_pk_mov_b32 v[28:29], v[4:5], v[4:5] op_sel:[0,1]
	s_waitcnt vmcnt(1)
	v_and_b32_e32 v2, v26, v28
	s_waitcnt vmcnt(0)
	v_mad_u64_u32 v[4:5], s[26:27], v2, 24, v[42:43]
	v_and_b32_e32 v1, v27, v29
	v_mov_b32_e32 v2, v5
	v_mad_u64_u32 v[26:27], s[26:27], v1, 24, v[2:3]
	v_mov_b32_e32 v5, v26
	global_load_dwordx2 v[26:27], v[4:5], off glc
	s_waitcnt vmcnt(0)
	global_atomic_cmpswap_x2 v[4:5], v35, v[26:29], s[2:3] offset:24 glc
	s_waitcnt vmcnt(0)
	buffer_invl2
	buffer_wbinvl1_vol
	v_cmp_eq_u64_e32 vcc, v[4:5], v[28:29]
	s_or_b64 s[24:25], vcc, s[24:25]
	s_andn2_b64 exec, exec, s[24:25]
	s_cbranch_execnz .LBB5_646
; %bb.647:                              ;   in Loop: Header=BB5_588 Depth=2
	s_or_b64 exec, exec, s[24:25]
.LBB5_648:                              ;   in Loop: Header=BB5_588 Depth=2
	s_or_b64 exec, exec, s[22:23]
.LBB5_649:                              ;   in Loop: Header=BB5_588 Depth=2
	s_or_b64 exec, exec, s[20:21]
	global_load_dwordx2 v[42:43], v35, s[2:3] offset:40
	global_load_dwordx4 v[26:29], v35, s[2:3]
	v_readfirstlane_b32 s20, v4
	v_readfirstlane_b32 s21, v5
	s_mov_b64 s[22:23], exec
	s_waitcnt vmcnt(1)
	v_readfirstlane_b32 s24, v42
	v_readfirstlane_b32 s25, v43
	s_and_b64 s[24:25], s[20:21], s[24:25]
	s_mul_i32 s26, s25, 24
	s_mul_hi_u32 s27, s24, 24
	s_mul_i32 s33, s24, 24
	s_add_i32 s26, s27, s26
	v_mov_b32_e32 v1, s26
	s_waitcnt vmcnt(0)
	v_add_co_u32_e32 v42, vcc, s33, v26
	v_addc_co_u32_e32 v43, vcc, v27, v1, vcc
	s_and_saveexec_b64 s[26:27], s[0:1]
	s_cbranch_execz .LBB5_651
; %bb.650:                              ;   in Loop: Header=BB5_588 Depth=2
	v_pk_mov_b32 v[4:5], s[22:23], s[22:23] op_sel:[0,1]
	global_store_dwordx4 v[42:43], v[4:7], off offset:8
.LBB5_651:                              ;   in Loop: Header=BB5_588 Depth=2
	s_or_b64 exec, exec, s[26:27]
	s_lshl_b64 s[22:23], s[24:25], 12
	v_mov_b32_e32 v1, s23
	v_add_co_u32_e32 v4, vcc, s22, v28
	v_addc_co_u32_e32 v1, vcc, v29, v1, vcc
	v_or_b32_e32 v2, 0, v9
	v_or_b32_e32 v5, v8, v40
	v_cmp_gt_u64_e64 vcc, s[16:17], 56
	s_lshl_b32 s22, s18, 2
	v_cndmask_b32_e32 v9, v2, v9, vcc
	v_cndmask_b32_e32 v2, v5, v8, vcc
	s_add_i32 s22, s22, 28
	s_and_b32 s22, s22, 0x1e0
	v_and_b32_e32 v2, 0xffffff1f, v2
	v_or_b32_e32 v8, s22, v2
	v_readfirstlane_b32 s22, v4
	v_readfirstlane_b32 s23, v1
	s_nop 4
	global_store_dwordx4 v49, v[8:11], s[22:23]
	global_store_dwordx4 v49, v[14:17], s[22:23] offset:16
	global_store_dwordx4 v49, v[18:21], s[22:23] offset:32
	;; [unrolled: 1-line block ×3, first 2 shown]
	s_and_saveexec_b64 s[22:23], s[0:1]
	s_cbranch_execz .LBB5_659
; %bb.652:                              ;   in Loop: Header=BB5_588 Depth=2
	global_load_dwordx2 v[18:19], v35, s[2:3] offset:32 glc
	global_load_dwordx2 v[8:9], v35, s[2:3] offset:40
	v_mov_b32_e32 v16, s20
	v_mov_b32_e32 v17, s21
	s_waitcnt vmcnt(0)
	v_readfirstlane_b32 s24, v8
	v_readfirstlane_b32 s25, v9
	s_and_b64 s[24:25], s[24:25], s[20:21]
	s_mul_i32 s25, s25, 24
	s_mul_hi_u32 s26, s24, 24
	s_mul_i32 s24, s24, 24
	s_add_i32 s25, s26, s25
	v_mov_b32_e32 v2, s25
	v_add_co_u32_e32 v14, vcc, s24, v26
	v_addc_co_u32_e32 v15, vcc, v27, v2, vcc
	global_store_dwordx2 v[14:15], v[18:19], off
	buffer_wbl2
	s_waitcnt vmcnt(0)
	global_atomic_cmpswap_x2 v[10:11], v35, v[16:19], s[2:3] offset:32 glc
	s_waitcnt vmcnt(0)
	v_cmp_ne_u64_e32 vcc, v[10:11], v[18:19]
	s_and_saveexec_b64 s[24:25], vcc
	s_cbranch_execz .LBB5_655
; %bb.653:                              ;   in Loop: Header=BB5_588 Depth=2
	s_mov_b64 s[26:27], 0
.LBB5_654:                              ;   Parent Loop BB5_3 Depth=1
                                        ;     Parent Loop BB5_588 Depth=2
                                        ; =>    This Inner Loop Header: Depth=3
	s_sleep 1
	global_store_dwordx2 v[14:15], v[10:11], off
	v_mov_b32_e32 v8, s20
	v_mov_b32_e32 v9, s21
	buffer_wbl2
	s_waitcnt vmcnt(0)
	global_atomic_cmpswap_x2 v[8:9], v35, v[8:11], s[2:3] offset:32 glc
	s_waitcnt vmcnt(0)
	v_cmp_eq_u64_e32 vcc, v[8:9], v[10:11]
	s_or_b64 s[26:27], vcc, s[26:27]
	v_pk_mov_b32 v[10:11], v[8:9], v[8:9] op_sel:[0,1]
	s_andn2_b64 exec, exec, s[26:27]
	s_cbranch_execnz .LBB5_654
.LBB5_655:                              ;   in Loop: Header=BB5_588 Depth=2
	s_or_b64 exec, exec, s[24:25]
	global_load_dwordx2 v[8:9], v35, s[2:3] offset:16
	s_mov_b64 s[26:27], exec
	v_mbcnt_lo_u32_b32 v2, s26, 0
	v_mbcnt_hi_u32_b32 v2, s27, v2
	v_cmp_eq_u32_e32 vcc, 0, v2
	s_and_saveexec_b64 s[24:25], vcc
	s_cbranch_execz .LBB5_657
; %bb.656:                              ;   in Loop: Header=BB5_588 Depth=2
	s_bcnt1_i32_b64 s26, s[26:27]
	v_mov_b32_e32 v2, s26
	buffer_wbl2
	s_waitcnt vmcnt(0)
	global_atomic_add_x2 v[8:9], v[2:3], off offset:8
.LBB5_657:                              ;   in Loop: Header=BB5_588 Depth=2
	s_or_b64 exec, exec, s[24:25]
	s_waitcnt vmcnt(0)
	global_load_dwordx2 v[10:11], v[8:9], off offset:16
	s_waitcnt vmcnt(0)
	v_cmp_eq_u64_e32 vcc, 0, v[10:11]
	s_cbranch_vccnz .LBB5_659
; %bb.658:                              ;   in Loop: Header=BB5_588 Depth=2
	global_load_dword v34, v[8:9], off offset:24
	s_waitcnt vmcnt(0)
	v_and_b32_e32 v2, 0xffffff, v34
	v_readfirstlane_b32 m0, v2
	buffer_wbl2
	global_store_dwordx2 v[10:11], v[34:35], off
	s_sendmsg sendmsg(MSG_INTERRUPT)
.LBB5_659:                              ;   in Loop: Header=BB5_588 Depth=2
	s_or_b64 exec, exec, s[22:23]
	v_add_co_u32_e32 v4, vcc, v4, v49
	v_addc_co_u32_e32 v5, vcc, 0, v1, vcc
	s_branch .LBB5_663
.LBB5_660:                              ;   in Loop: Header=BB5_663 Depth=3
	s_or_b64 exec, exec, s[22:23]
	v_readfirstlane_b32 s22, v1
	s_cmp_eq_u32 s22, 0
	s_cbranch_scc1 .LBB5_662
; %bb.661:                              ;   in Loop: Header=BB5_663 Depth=3
	s_sleep 1
	s_cbranch_execnz .LBB5_663
	s_branch .LBB5_665
.LBB5_662:                              ;   in Loop: Header=BB5_588 Depth=2
	s_branch .LBB5_665
.LBB5_663:                              ;   Parent Loop BB5_3 Depth=1
                                        ;     Parent Loop BB5_588 Depth=2
                                        ; =>    This Inner Loop Header: Depth=3
	v_mov_b32_e32 v1, 1
	s_and_saveexec_b64 s[22:23], s[0:1]
	s_cbranch_execz .LBB5_660
; %bb.664:                              ;   in Loop: Header=BB5_663 Depth=3
	global_load_dword v1, v[42:43], off offset:20 glc
	s_waitcnt vmcnt(0)
	buffer_invl2
	buffer_wbinvl1_vol
	v_and_b32_e32 v1, 1, v1
	s_branch .LBB5_660
.LBB5_665:                              ;   in Loop: Header=BB5_588 Depth=2
	global_load_dwordx4 v[8:11], v[4:5], off
	s_and_saveexec_b64 s[22:23], s[0:1]
	s_cbranch_execz .LBB5_587
; %bb.666:                              ;   in Loop: Header=BB5_588 Depth=2
	global_load_dwordx2 v[4:5], v35, s[2:3] offset:40
	global_load_dwordx2 v[10:11], v35, s[2:3] offset:24 glc
	global_load_dwordx2 v[18:19], v35, s[2:3]
	v_mov_b32_e32 v1, s21
	s_waitcnt vmcnt(2)
	v_add_co_u32_e32 v2, vcc, 1, v4
	v_addc_co_u32_e32 v17, vcc, 0, v5, vcc
	v_add_co_u32_e32 v14, vcc, s20, v2
	v_addc_co_u32_e32 v15, vcc, v17, v1, vcc
	v_cmp_eq_u64_e32 vcc, 0, v[14:15]
	v_cndmask_b32_e32 v15, v15, v17, vcc
	v_cndmask_b32_e32 v14, v14, v2, vcc
	v_and_b32_e32 v1, v15, v5
	v_and_b32_e32 v2, v14, v4
	v_mul_lo_u32 v1, v1, 24
	v_mul_hi_u32 v4, v2, 24
	v_mul_lo_u32 v2, v2, 24
	v_add_u32_e32 v1, v4, v1
	s_waitcnt vmcnt(0)
	v_add_co_u32_e32 v4, vcc, v18, v2
	v_addc_co_u32_e32 v5, vcc, v19, v1, vcc
	v_mov_b32_e32 v16, v10
	global_store_dwordx2 v[4:5], v[10:11], off
	v_mov_b32_e32 v17, v11
	buffer_wbl2
	s_waitcnt vmcnt(0)
	global_atomic_cmpswap_x2 v[16:17], v35, v[14:17], s[2:3] offset:24 glc
	s_waitcnt vmcnt(0)
	v_cmp_ne_u64_e32 vcc, v[16:17], v[10:11]
	s_and_b64 exec, exec, vcc
	s_cbranch_execz .LBB5_587
; %bb.667:                              ;   in Loop: Header=BB5_588 Depth=2
	s_mov_b64 s[0:1], 0
.LBB5_668:                              ;   Parent Loop BB5_3 Depth=1
                                        ;     Parent Loop BB5_588 Depth=2
                                        ; =>    This Inner Loop Header: Depth=3
	s_sleep 1
	global_store_dwordx2 v[4:5], v[16:17], off
	buffer_wbl2
	s_waitcnt vmcnt(0)
	global_atomic_cmpswap_x2 v[10:11], v35, v[14:17], s[2:3] offset:24 glc
	s_waitcnt vmcnt(0)
	v_cmp_eq_u64_e32 vcc, v[10:11], v[16:17]
	s_or_b64 s[0:1], vcc, s[0:1]
	v_pk_mov_b32 v[16:17], v[10:11], v[10:11] op_sel:[0,1]
	s_andn2_b64 exec, exec, s[0:1]
	s_cbranch_execnz .LBB5_668
	s_branch .LBB5_587
.LBB5_669:                              ;   in Loop: Header=BB5_3 Depth=1
.LBB5_670:                              ;   in Loop: Header=BB5_3 Depth=1
	s_and_b64 vcc, exec, s[12:13]
	s_cbranch_vccz .LBB5_783
.LBB5_671:                              ;   in Loop: Header=BB5_3 Depth=1
	s_waitcnt vmcnt(0)
	v_and_b32_e32 v40, 2, v8
	v_and_b32_e32 v10, -3, v8
	v_mov_b32_e32 v11, v9
	s_mov_b64 s[16:17], 45
	s_getpc_b64 s[14:15]
	s_add_u32 s14, s14, .str.6@rel32@lo+4
	s_addc_u32 s15, s15, .str.6@rel32@hi+12
	s_branch .LBB5_673
.LBB5_672:                              ;   in Loop: Header=BB5_673 Depth=2
	s_or_b64 exec, exec, s[22:23]
	s_sub_u32 s16, s16, s18
	s_subb_u32 s17, s17, s19
	s_add_u32 s14, s14, s18
	s_addc_u32 s15, s15, s19
	s_cmp_lg_u64 s[16:17], 0
	s_cbranch_scc0 .LBB5_754
.LBB5_673:                              ;   Parent Loop BB5_3 Depth=1
                                        ; =>  This Loop Header: Depth=2
                                        ;       Child Loop BB5_676 Depth 3
                                        ;       Child Loop BB5_683 Depth 3
	;; [unrolled: 1-line block ×11, first 2 shown]
	v_cmp_lt_u64_e64 s[0:1], s[16:17], 56
	s_and_b64 s[0:1], s[0:1], exec
	v_cmp_gt_u64_e64 s[0:1], s[16:17], 7
	s_cselect_b32 s19, s17, 0
	s_cselect_b32 s18, s16, 56
	s_and_b64 vcc, exec, s[0:1]
	s_cbranch_vccnz .LBB5_678
; %bb.674:                              ;   in Loop: Header=BB5_673 Depth=2
	s_mov_b64 s[0:1], 0
	s_cmp_eq_u64 s[16:17], 0
	s_waitcnt vmcnt(0)
	v_pk_mov_b32 v[12:13], 0, 0
	s_cbranch_scc1 .LBB5_677
; %bb.675:                              ;   in Loop: Header=BB5_673 Depth=2
	s_lshl_b64 s[20:21], s[18:19], 3
	s_mov_b64 s[22:23], 0
	v_pk_mov_b32 v[12:13], 0, 0
	s_mov_b64 s[24:25], s[14:15]
.LBB5_676:                              ;   Parent Loop BB5_3 Depth=1
                                        ;     Parent Loop BB5_673 Depth=2
                                        ; =>    This Inner Loop Header: Depth=3
	global_load_ubyte v1, v35, s[24:25]
	s_waitcnt vmcnt(0)
	v_and_b32_e32 v34, 0xffff, v1
	v_lshlrev_b64 v[4:5], s22, v[34:35]
	s_add_u32 s22, s22, 8
	s_addc_u32 s23, s23, 0
	s_add_u32 s24, s24, 1
	s_addc_u32 s25, s25, 0
	v_or_b32_e32 v12, v4, v12
	s_cmp_lg_u32 s20, s22
	v_or_b32_e32 v13, v5, v13
	s_cbranch_scc1 .LBB5_676
.LBB5_677:                              ;   in Loop: Header=BB5_673 Depth=2
	s_mov_b32 s24, 0
	s_andn2_b64 vcc, exec, s[0:1]
	s_mov_b64 s[0:1], s[14:15]
	s_cbranch_vccz .LBB5_679
	s_branch .LBB5_680
.LBB5_678:                              ;   in Loop: Header=BB5_673 Depth=2
                                        ; implicit-def: $vgpr12_vgpr13
                                        ; implicit-def: $sgpr24
	s_mov_b64 s[0:1], s[14:15]
.LBB5_679:                              ;   in Loop: Header=BB5_673 Depth=2
	global_load_dwordx2 v[12:13], v35, s[14:15]
	s_add_i32 s24, s18, -8
	s_add_u32 s0, s14, 8
	s_addc_u32 s1, s15, 0
.LBB5_680:                              ;   in Loop: Header=BB5_673 Depth=2
	s_cmp_gt_u32 s24, 7
	s_cbranch_scc1 .LBB5_684
; %bb.681:                              ;   in Loop: Header=BB5_673 Depth=2
	s_cmp_eq_u32 s24, 0
	s_cbranch_scc1 .LBB5_685
; %bb.682:                              ;   in Loop: Header=BB5_673 Depth=2
	s_mov_b64 s[20:21], 0
	v_pk_mov_b32 v[14:15], 0, 0
	s_mov_b64 s[22:23], 0
.LBB5_683:                              ;   Parent Loop BB5_3 Depth=1
                                        ;     Parent Loop BB5_673 Depth=2
                                        ; =>    This Inner Loop Header: Depth=3
	s_add_u32 s26, s0, s22
	s_addc_u32 s27, s1, s23
	global_load_ubyte v1, v35, s[26:27]
	s_add_u32 s22, s22, 1
	s_addc_u32 s23, s23, 0
	s_waitcnt vmcnt(0)
	v_and_b32_e32 v34, 0xffff, v1
	v_lshlrev_b64 v[4:5], s20, v[34:35]
	s_add_u32 s20, s20, 8
	s_addc_u32 s21, s21, 0
	v_or_b32_e32 v14, v4, v14
	s_cmp_lg_u32 s24, s22
	v_or_b32_e32 v15, v5, v15
	s_cbranch_scc1 .LBB5_683
	s_branch .LBB5_686
.LBB5_684:                              ;   in Loop: Header=BB5_673 Depth=2
                                        ; implicit-def: $vgpr14_vgpr15
                                        ; implicit-def: $sgpr25
	s_branch .LBB5_687
.LBB5_685:                              ;   in Loop: Header=BB5_673 Depth=2
	v_pk_mov_b32 v[14:15], 0, 0
.LBB5_686:                              ;   in Loop: Header=BB5_673 Depth=2
	s_mov_b32 s25, 0
	s_cbranch_execnz .LBB5_688
.LBB5_687:                              ;   in Loop: Header=BB5_673 Depth=2
	global_load_dwordx2 v[14:15], v35, s[0:1]
	s_add_i32 s25, s24, -8
	s_add_u32 s0, s0, 8
	s_addc_u32 s1, s1, 0
.LBB5_688:                              ;   in Loop: Header=BB5_673 Depth=2
	s_cmp_gt_u32 s25, 7
	s_cbranch_scc1 .LBB5_692
; %bb.689:                              ;   in Loop: Header=BB5_673 Depth=2
	s_cmp_eq_u32 s25, 0
	s_cbranch_scc1 .LBB5_693
; %bb.690:                              ;   in Loop: Header=BB5_673 Depth=2
	s_mov_b64 s[20:21], 0
	v_pk_mov_b32 v[16:17], 0, 0
	s_mov_b64 s[22:23], 0
.LBB5_691:                              ;   Parent Loop BB5_3 Depth=1
                                        ;     Parent Loop BB5_673 Depth=2
                                        ; =>    This Inner Loop Header: Depth=3
	s_add_u32 s26, s0, s22
	s_addc_u32 s27, s1, s23
	global_load_ubyte v1, v35, s[26:27]
	s_add_u32 s22, s22, 1
	s_addc_u32 s23, s23, 0
	s_waitcnt vmcnt(0)
	v_and_b32_e32 v34, 0xffff, v1
	v_lshlrev_b64 v[4:5], s20, v[34:35]
	s_add_u32 s20, s20, 8
	s_addc_u32 s21, s21, 0
	v_or_b32_e32 v16, v4, v16
	s_cmp_lg_u32 s25, s22
	v_or_b32_e32 v17, v5, v17
	s_cbranch_scc1 .LBB5_691
	s_branch .LBB5_694
.LBB5_692:                              ;   in Loop: Header=BB5_673 Depth=2
                                        ; implicit-def: $sgpr24
	s_branch .LBB5_695
.LBB5_693:                              ;   in Loop: Header=BB5_673 Depth=2
	v_pk_mov_b32 v[16:17], 0, 0
.LBB5_694:                              ;   in Loop: Header=BB5_673 Depth=2
	s_mov_b32 s24, 0
	s_cbranch_execnz .LBB5_696
.LBB5_695:                              ;   in Loop: Header=BB5_673 Depth=2
	global_load_dwordx2 v[16:17], v35, s[0:1]
	s_add_i32 s24, s25, -8
	s_add_u32 s0, s0, 8
	s_addc_u32 s1, s1, 0
.LBB5_696:                              ;   in Loop: Header=BB5_673 Depth=2
	s_cmp_gt_u32 s24, 7
	s_cbranch_scc1 .LBB5_700
; %bb.697:                              ;   in Loop: Header=BB5_673 Depth=2
	s_cmp_eq_u32 s24, 0
	s_cbranch_scc1 .LBB5_701
; %bb.698:                              ;   in Loop: Header=BB5_673 Depth=2
	s_mov_b64 s[20:21], 0
	v_pk_mov_b32 v[18:19], 0, 0
	s_mov_b64 s[22:23], 0
.LBB5_699:                              ;   Parent Loop BB5_3 Depth=1
                                        ;     Parent Loop BB5_673 Depth=2
                                        ; =>    This Inner Loop Header: Depth=3
	s_add_u32 s26, s0, s22
	s_addc_u32 s27, s1, s23
	global_load_ubyte v1, v35, s[26:27]
	s_add_u32 s22, s22, 1
	s_addc_u32 s23, s23, 0
	s_waitcnt vmcnt(0)
	v_and_b32_e32 v34, 0xffff, v1
	v_lshlrev_b64 v[4:5], s20, v[34:35]
	s_add_u32 s20, s20, 8
	s_addc_u32 s21, s21, 0
	v_or_b32_e32 v18, v4, v18
	s_cmp_lg_u32 s24, s22
	v_or_b32_e32 v19, v5, v19
	s_cbranch_scc1 .LBB5_699
	s_branch .LBB5_702
.LBB5_700:                              ;   in Loop: Header=BB5_673 Depth=2
                                        ; implicit-def: $vgpr18_vgpr19
                                        ; implicit-def: $sgpr25
	s_branch .LBB5_703
.LBB5_701:                              ;   in Loop: Header=BB5_673 Depth=2
	v_pk_mov_b32 v[18:19], 0, 0
.LBB5_702:                              ;   in Loop: Header=BB5_673 Depth=2
	s_mov_b32 s25, 0
	s_cbranch_execnz .LBB5_704
.LBB5_703:                              ;   in Loop: Header=BB5_673 Depth=2
	global_load_dwordx2 v[18:19], v35, s[0:1]
	s_add_i32 s25, s24, -8
	s_add_u32 s0, s0, 8
	s_addc_u32 s1, s1, 0
.LBB5_704:                              ;   in Loop: Header=BB5_673 Depth=2
	s_cmp_gt_u32 s25, 7
	s_cbranch_scc1 .LBB5_708
; %bb.705:                              ;   in Loop: Header=BB5_673 Depth=2
	s_cmp_eq_u32 s25, 0
	s_cbranch_scc1 .LBB5_709
; %bb.706:                              ;   in Loop: Header=BB5_673 Depth=2
	s_mov_b64 s[20:21], 0
	v_pk_mov_b32 v[20:21], 0, 0
	s_mov_b64 s[22:23], 0
.LBB5_707:                              ;   Parent Loop BB5_3 Depth=1
                                        ;     Parent Loop BB5_673 Depth=2
                                        ; =>    This Inner Loop Header: Depth=3
	s_add_u32 s26, s0, s22
	s_addc_u32 s27, s1, s23
	global_load_ubyte v1, v35, s[26:27]
	s_add_u32 s22, s22, 1
	s_addc_u32 s23, s23, 0
	s_waitcnt vmcnt(0)
	v_and_b32_e32 v34, 0xffff, v1
	v_lshlrev_b64 v[4:5], s20, v[34:35]
	s_add_u32 s20, s20, 8
	s_addc_u32 s21, s21, 0
	v_or_b32_e32 v20, v4, v20
	s_cmp_lg_u32 s25, s22
	v_or_b32_e32 v21, v5, v21
	s_cbranch_scc1 .LBB5_707
	s_branch .LBB5_710
.LBB5_708:                              ;   in Loop: Header=BB5_673 Depth=2
                                        ; implicit-def: $sgpr24
	s_branch .LBB5_711
.LBB5_709:                              ;   in Loop: Header=BB5_673 Depth=2
	v_pk_mov_b32 v[20:21], 0, 0
.LBB5_710:                              ;   in Loop: Header=BB5_673 Depth=2
	s_mov_b32 s24, 0
	s_cbranch_execnz .LBB5_712
.LBB5_711:                              ;   in Loop: Header=BB5_673 Depth=2
	global_load_dwordx2 v[20:21], v35, s[0:1]
	s_add_i32 s24, s25, -8
	s_add_u32 s0, s0, 8
	s_addc_u32 s1, s1, 0
.LBB5_712:                              ;   in Loop: Header=BB5_673 Depth=2
	s_cmp_gt_u32 s24, 7
	s_cbranch_scc1 .LBB5_716
; %bb.713:                              ;   in Loop: Header=BB5_673 Depth=2
	s_cmp_eq_u32 s24, 0
	s_cbranch_scc1 .LBB5_717
; %bb.714:                              ;   in Loop: Header=BB5_673 Depth=2
	s_mov_b64 s[20:21], 0
	v_pk_mov_b32 v[22:23], 0, 0
	s_mov_b64 s[22:23], 0
.LBB5_715:                              ;   Parent Loop BB5_3 Depth=1
                                        ;     Parent Loop BB5_673 Depth=2
                                        ; =>    This Inner Loop Header: Depth=3
	s_add_u32 s26, s0, s22
	s_addc_u32 s27, s1, s23
	global_load_ubyte v1, v35, s[26:27]
	s_add_u32 s22, s22, 1
	s_addc_u32 s23, s23, 0
	s_waitcnt vmcnt(0)
	v_and_b32_e32 v34, 0xffff, v1
	v_lshlrev_b64 v[4:5], s20, v[34:35]
	s_add_u32 s20, s20, 8
	s_addc_u32 s21, s21, 0
	v_or_b32_e32 v22, v4, v22
	s_cmp_lg_u32 s24, s22
	v_or_b32_e32 v23, v5, v23
	s_cbranch_scc1 .LBB5_715
	s_branch .LBB5_718
.LBB5_716:                              ;   in Loop: Header=BB5_673 Depth=2
                                        ; implicit-def: $vgpr22_vgpr23
                                        ; implicit-def: $sgpr25
	s_branch .LBB5_719
.LBB5_717:                              ;   in Loop: Header=BB5_673 Depth=2
	v_pk_mov_b32 v[22:23], 0, 0
.LBB5_718:                              ;   in Loop: Header=BB5_673 Depth=2
	s_mov_b32 s25, 0
	s_cbranch_execnz .LBB5_720
.LBB5_719:                              ;   in Loop: Header=BB5_673 Depth=2
	global_load_dwordx2 v[22:23], v35, s[0:1]
	s_add_i32 s25, s24, -8
	s_add_u32 s0, s0, 8
	s_addc_u32 s1, s1, 0
.LBB5_720:                              ;   in Loop: Header=BB5_673 Depth=2
	s_cmp_gt_u32 s25, 7
	s_cbranch_scc1 .LBB5_724
; %bb.721:                              ;   in Loop: Header=BB5_673 Depth=2
	s_cmp_eq_u32 s25, 0
	s_cbranch_scc1 .LBB5_725
; %bb.722:                              ;   in Loop: Header=BB5_673 Depth=2
	s_mov_b64 s[20:21], 0
	v_pk_mov_b32 v[24:25], 0, 0
	s_mov_b64 s[22:23], s[0:1]
.LBB5_723:                              ;   Parent Loop BB5_3 Depth=1
                                        ;     Parent Loop BB5_673 Depth=2
                                        ; =>    This Inner Loop Header: Depth=3
	global_load_ubyte v1, v35, s[22:23]
	s_add_i32 s25, s25, -1
	s_waitcnt vmcnt(0)
	v_and_b32_e32 v34, 0xffff, v1
	v_lshlrev_b64 v[4:5], s20, v[34:35]
	s_add_u32 s20, s20, 8
	s_addc_u32 s21, s21, 0
	s_add_u32 s22, s22, 1
	s_addc_u32 s23, s23, 0
	v_or_b32_e32 v24, v4, v24
	s_cmp_lg_u32 s25, 0
	v_or_b32_e32 v25, v5, v25
	s_cbranch_scc1 .LBB5_723
	s_branch .LBB5_726
.LBB5_724:                              ;   in Loop: Header=BB5_673 Depth=2
	s_branch .LBB5_727
.LBB5_725:                              ;   in Loop: Header=BB5_673 Depth=2
	v_pk_mov_b32 v[24:25], 0, 0
.LBB5_726:                              ;   in Loop: Header=BB5_673 Depth=2
	s_cbranch_execnz .LBB5_728
.LBB5_727:                              ;   in Loop: Header=BB5_673 Depth=2
	global_load_dwordx2 v[24:25], v35, s[0:1]
.LBB5_728:                              ;   in Loop: Header=BB5_673 Depth=2
	v_readfirstlane_b32 s0, v32
	v_cmp_eq_u32_e64 s[0:1], s0, v32
	v_pk_mov_b32 v[4:5], 0, 0
	s_and_saveexec_b64 s[20:21], s[0:1]
	s_cbranch_execz .LBB5_734
; %bb.729:                              ;   in Loop: Header=BB5_673 Depth=2
	global_load_dwordx2 v[28:29], v35, s[2:3] offset:24 glc
	s_waitcnt vmcnt(0)
	buffer_invl2
	buffer_wbinvl1_vol
	global_load_dwordx2 v[4:5], v35, s[2:3] offset:40
	global_load_dwordx2 v[26:27], v35, s[2:3]
	s_waitcnt vmcnt(1)
	v_and_b32_e32 v1, v4, v28
	v_and_b32_e32 v2, v5, v29
	v_mul_lo_u32 v2, v2, 24
	v_mul_hi_u32 v4, v1, 24
	v_mul_lo_u32 v1, v1, 24
	v_add_u32_e32 v2, v4, v2
	s_waitcnt vmcnt(0)
	v_add_co_u32_e32 v4, vcc, v26, v1
	v_addc_co_u32_e32 v5, vcc, v27, v2, vcc
	global_load_dwordx2 v[26:27], v[4:5], off glc
	s_waitcnt vmcnt(0)
	global_atomic_cmpswap_x2 v[4:5], v35, v[26:29], s[2:3] offset:24 glc
	s_waitcnt vmcnt(0)
	buffer_invl2
	buffer_wbinvl1_vol
	v_cmp_ne_u64_e32 vcc, v[4:5], v[28:29]
	s_and_saveexec_b64 s[22:23], vcc
	s_cbranch_execz .LBB5_733
; %bb.730:                              ;   in Loop: Header=BB5_673 Depth=2
	s_mov_b64 s[24:25], 0
.LBB5_731:                              ;   Parent Loop BB5_3 Depth=1
                                        ;     Parent Loop BB5_673 Depth=2
                                        ; =>    This Inner Loop Header: Depth=3
	s_sleep 1
	global_load_dwordx2 v[26:27], v35, s[2:3] offset:40
	global_load_dwordx2 v[42:43], v35, s[2:3]
	v_pk_mov_b32 v[28:29], v[4:5], v[4:5] op_sel:[0,1]
	s_waitcnt vmcnt(1)
	v_and_b32_e32 v2, v26, v28
	s_waitcnt vmcnt(0)
	v_mad_u64_u32 v[4:5], s[26:27], v2, 24, v[42:43]
	v_and_b32_e32 v1, v27, v29
	v_mov_b32_e32 v2, v5
	v_mad_u64_u32 v[26:27], s[26:27], v1, 24, v[2:3]
	v_mov_b32_e32 v5, v26
	global_load_dwordx2 v[26:27], v[4:5], off glc
	s_waitcnt vmcnt(0)
	global_atomic_cmpswap_x2 v[4:5], v35, v[26:29], s[2:3] offset:24 glc
	s_waitcnt vmcnt(0)
	buffer_invl2
	buffer_wbinvl1_vol
	v_cmp_eq_u64_e32 vcc, v[4:5], v[28:29]
	s_or_b64 s[24:25], vcc, s[24:25]
	s_andn2_b64 exec, exec, s[24:25]
	s_cbranch_execnz .LBB5_731
; %bb.732:                              ;   in Loop: Header=BB5_673 Depth=2
	s_or_b64 exec, exec, s[24:25]
.LBB5_733:                              ;   in Loop: Header=BB5_673 Depth=2
	s_or_b64 exec, exec, s[22:23]
.LBB5_734:                              ;   in Loop: Header=BB5_673 Depth=2
	s_or_b64 exec, exec, s[20:21]
	global_load_dwordx2 v[42:43], v35, s[2:3] offset:40
	global_load_dwordx4 v[26:29], v35, s[2:3]
	v_readfirstlane_b32 s20, v4
	v_readfirstlane_b32 s21, v5
	s_mov_b64 s[22:23], exec
	s_waitcnt vmcnt(1)
	v_readfirstlane_b32 s24, v42
	v_readfirstlane_b32 s25, v43
	s_and_b64 s[24:25], s[20:21], s[24:25]
	s_mul_i32 s26, s25, 24
	s_mul_hi_u32 s27, s24, 24
	s_mul_i32 s33, s24, 24
	s_add_i32 s26, s27, s26
	v_mov_b32_e32 v1, s26
	s_waitcnt vmcnt(0)
	v_add_co_u32_e32 v42, vcc, s33, v26
	v_addc_co_u32_e32 v43, vcc, v27, v1, vcc
	s_and_saveexec_b64 s[26:27], s[0:1]
	s_cbranch_execz .LBB5_736
; %bb.735:                              ;   in Loop: Header=BB5_673 Depth=2
	v_pk_mov_b32 v[4:5], s[22:23], s[22:23] op_sel:[0,1]
	global_store_dwordx4 v[42:43], v[4:7], off offset:8
.LBB5_736:                              ;   in Loop: Header=BB5_673 Depth=2
	s_or_b64 exec, exec, s[26:27]
	s_lshl_b64 s[22:23], s[24:25], 12
	v_mov_b32_e32 v1, s23
	v_add_co_u32_e32 v4, vcc, s22, v28
	v_addc_co_u32_e32 v1, vcc, v29, v1, vcc
	v_or_b32_e32 v2, 0, v11
	v_or_b32_e32 v5, v10, v40
	v_cmp_gt_u64_e64 vcc, s[16:17], 56
	s_lshl_b32 s22, s18, 2
	v_cndmask_b32_e32 v11, v2, v11, vcc
	v_cndmask_b32_e32 v2, v5, v10, vcc
	s_add_i32 s22, s22, 28
	s_and_b32 s22, s22, 0x1e0
	v_and_b32_e32 v2, 0xffffff1f, v2
	v_or_b32_e32 v10, s22, v2
	v_readfirstlane_b32 s22, v4
	v_readfirstlane_b32 s23, v1
	s_nop 4
	global_store_dwordx4 v49, v[10:13], s[22:23]
	global_store_dwordx4 v49, v[14:17], s[22:23] offset:16
	global_store_dwordx4 v49, v[18:21], s[22:23] offset:32
	;; [unrolled: 1-line block ×3, first 2 shown]
	s_and_saveexec_b64 s[22:23], s[0:1]
	s_cbranch_execz .LBB5_744
; %bb.737:                              ;   in Loop: Header=BB5_673 Depth=2
	global_load_dwordx2 v[18:19], v35, s[2:3] offset:32 glc
	global_load_dwordx2 v[10:11], v35, s[2:3] offset:40
	v_mov_b32_e32 v16, s20
	v_mov_b32_e32 v17, s21
	s_waitcnt vmcnt(0)
	v_readfirstlane_b32 s24, v10
	v_readfirstlane_b32 s25, v11
	s_and_b64 s[24:25], s[24:25], s[20:21]
	s_mul_i32 s25, s25, 24
	s_mul_hi_u32 s26, s24, 24
	s_mul_i32 s24, s24, 24
	s_add_i32 s25, s26, s25
	v_mov_b32_e32 v2, s25
	v_add_co_u32_e32 v14, vcc, s24, v26
	v_addc_co_u32_e32 v15, vcc, v27, v2, vcc
	global_store_dwordx2 v[14:15], v[18:19], off
	buffer_wbl2
	s_waitcnt vmcnt(0)
	global_atomic_cmpswap_x2 v[12:13], v35, v[16:19], s[2:3] offset:32 glc
	s_waitcnt vmcnt(0)
	v_cmp_ne_u64_e32 vcc, v[12:13], v[18:19]
	s_and_saveexec_b64 s[24:25], vcc
	s_cbranch_execz .LBB5_740
; %bb.738:                              ;   in Loop: Header=BB5_673 Depth=2
	s_mov_b64 s[26:27], 0
.LBB5_739:                              ;   Parent Loop BB5_3 Depth=1
                                        ;     Parent Loop BB5_673 Depth=2
                                        ; =>    This Inner Loop Header: Depth=3
	s_sleep 1
	global_store_dwordx2 v[14:15], v[12:13], off
	v_mov_b32_e32 v10, s20
	v_mov_b32_e32 v11, s21
	buffer_wbl2
	s_waitcnt vmcnt(0)
	global_atomic_cmpswap_x2 v[10:11], v35, v[10:13], s[2:3] offset:32 glc
	s_waitcnt vmcnt(0)
	v_cmp_eq_u64_e32 vcc, v[10:11], v[12:13]
	s_or_b64 s[26:27], vcc, s[26:27]
	v_pk_mov_b32 v[12:13], v[10:11], v[10:11] op_sel:[0,1]
	s_andn2_b64 exec, exec, s[26:27]
	s_cbranch_execnz .LBB5_739
.LBB5_740:                              ;   in Loop: Header=BB5_673 Depth=2
	s_or_b64 exec, exec, s[24:25]
	global_load_dwordx2 v[10:11], v35, s[2:3] offset:16
	s_mov_b64 s[26:27], exec
	v_mbcnt_lo_u32_b32 v2, s26, 0
	v_mbcnt_hi_u32_b32 v2, s27, v2
	v_cmp_eq_u32_e32 vcc, 0, v2
	s_and_saveexec_b64 s[24:25], vcc
	s_cbranch_execz .LBB5_742
; %bb.741:                              ;   in Loop: Header=BB5_673 Depth=2
	s_bcnt1_i32_b64 s26, s[26:27]
	v_mov_b32_e32 v2, s26
	buffer_wbl2
	s_waitcnt vmcnt(0)
	global_atomic_add_x2 v[10:11], v[2:3], off offset:8
.LBB5_742:                              ;   in Loop: Header=BB5_673 Depth=2
	s_or_b64 exec, exec, s[24:25]
	s_waitcnt vmcnt(0)
	global_load_dwordx2 v[12:13], v[10:11], off offset:16
	s_waitcnt vmcnt(0)
	v_cmp_eq_u64_e32 vcc, 0, v[12:13]
	s_cbranch_vccnz .LBB5_744
; %bb.743:                              ;   in Loop: Header=BB5_673 Depth=2
	global_load_dword v34, v[10:11], off offset:24
	s_waitcnt vmcnt(0)
	v_and_b32_e32 v2, 0xffffff, v34
	v_readfirstlane_b32 m0, v2
	buffer_wbl2
	global_store_dwordx2 v[12:13], v[34:35], off
	s_sendmsg sendmsg(MSG_INTERRUPT)
.LBB5_744:                              ;   in Loop: Header=BB5_673 Depth=2
	s_or_b64 exec, exec, s[22:23]
	v_add_co_u32_e32 v4, vcc, v4, v49
	v_addc_co_u32_e32 v5, vcc, 0, v1, vcc
	s_branch .LBB5_748
.LBB5_745:                              ;   in Loop: Header=BB5_748 Depth=3
	s_or_b64 exec, exec, s[22:23]
	v_readfirstlane_b32 s22, v1
	s_cmp_eq_u32 s22, 0
	s_cbranch_scc1 .LBB5_747
; %bb.746:                              ;   in Loop: Header=BB5_748 Depth=3
	s_sleep 1
	s_cbranch_execnz .LBB5_748
	s_branch .LBB5_750
.LBB5_747:                              ;   in Loop: Header=BB5_673 Depth=2
	s_branch .LBB5_750
.LBB5_748:                              ;   Parent Loop BB5_3 Depth=1
                                        ;     Parent Loop BB5_673 Depth=2
                                        ; =>    This Inner Loop Header: Depth=3
	v_mov_b32_e32 v1, 1
	s_and_saveexec_b64 s[22:23], s[0:1]
	s_cbranch_execz .LBB5_745
; %bb.749:                              ;   in Loop: Header=BB5_748 Depth=3
	global_load_dword v1, v[42:43], off offset:20 glc
	s_waitcnt vmcnt(0)
	buffer_invl2
	buffer_wbinvl1_vol
	v_and_b32_e32 v1, 1, v1
	s_branch .LBB5_745
.LBB5_750:                              ;   in Loop: Header=BB5_673 Depth=2
	global_load_dwordx4 v[10:13], v[4:5], off
	s_and_saveexec_b64 s[22:23], s[0:1]
	s_cbranch_execz .LBB5_672
; %bb.751:                              ;   in Loop: Header=BB5_673 Depth=2
	global_load_dwordx2 v[4:5], v35, s[2:3] offset:40
	global_load_dwordx2 v[16:17], v35, s[2:3] offset:24 glc
	global_load_dwordx2 v[18:19], v35, s[2:3]
	v_mov_b32_e32 v1, s21
	s_waitcnt vmcnt(2)
	v_add_co_u32_e32 v2, vcc, 1, v4
	v_addc_co_u32_e32 v15, vcc, 0, v5, vcc
	v_add_co_u32_e32 v12, vcc, s20, v2
	v_addc_co_u32_e32 v13, vcc, v15, v1, vcc
	v_cmp_eq_u64_e32 vcc, 0, v[12:13]
	v_cndmask_b32_e32 v13, v13, v15, vcc
	v_cndmask_b32_e32 v12, v12, v2, vcc
	v_and_b32_e32 v1, v13, v5
	v_and_b32_e32 v2, v12, v4
	v_mul_lo_u32 v1, v1, 24
	v_mul_hi_u32 v4, v2, 24
	v_mul_lo_u32 v2, v2, 24
	v_add_u32_e32 v1, v4, v1
	s_waitcnt vmcnt(0)
	v_add_co_u32_e32 v4, vcc, v18, v2
	v_addc_co_u32_e32 v5, vcc, v19, v1, vcc
	v_mov_b32_e32 v14, v16
	global_store_dwordx2 v[4:5], v[16:17], off
	v_mov_b32_e32 v15, v17
	buffer_wbl2
	s_waitcnt vmcnt(0)
	global_atomic_cmpswap_x2 v[14:15], v35, v[12:15], s[2:3] offset:24 glc
	s_waitcnt vmcnt(0)
	v_cmp_ne_u64_e32 vcc, v[14:15], v[16:17]
	s_and_b64 exec, exec, vcc
	s_cbranch_execz .LBB5_672
; %bb.752:                              ;   in Loop: Header=BB5_673 Depth=2
	s_mov_b64 s[0:1], 0
.LBB5_753:                              ;   Parent Loop BB5_3 Depth=1
                                        ;     Parent Loop BB5_673 Depth=2
                                        ; =>    This Inner Loop Header: Depth=3
	s_sleep 1
	global_store_dwordx2 v[4:5], v[14:15], off
	buffer_wbl2
	s_waitcnt vmcnt(0)
	global_atomic_cmpswap_x2 v[16:17], v35, v[12:15], s[2:3] offset:24 glc
	s_waitcnt vmcnt(0)
	v_cmp_eq_u64_e32 vcc, v[16:17], v[14:15]
	s_or_b64 s[0:1], vcc, s[0:1]
	v_pk_mov_b32 v[14:15], v[16:17], v[16:17] op_sel:[0,1]
	s_andn2_b64 exec, exec, s[0:1]
	s_cbranch_execnz .LBB5_753
	s_branch .LBB5_672
.LBB5_754:                              ;   in Loop: Header=BB5_3 Depth=1
	s_branch .LBB5_811
.LBB5_755:                              ;   in Loop: Header=BB5_3 Depth=1
                                        ; implicit-def: $vgpr8_vgpr9
	s_cbranch_execz .LBB5_670
; %bb.756:                              ;   in Loop: Header=BB5_3 Depth=1
	v_readfirstlane_b32 s0, v32
	v_cmp_eq_u32_e64 s[0:1], s0, v32
	v_pk_mov_b32 v[4:5], 0, 0
	s_and_saveexec_b64 s[14:15], s[0:1]
	s_cbranch_execz .LBB5_762
; %bb.757:                              ;   in Loop: Header=BB5_3 Depth=1
	global_load_dwordx2 v[10:11], v35, s[2:3] offset:24 glc
	s_waitcnt vmcnt(0)
	buffer_invl2
	buffer_wbinvl1_vol
	global_load_dwordx2 v[4:5], v35, s[2:3] offset:40
	global_load_dwordx2 v[8:9], v35, s[2:3]
	s_waitcnt vmcnt(1)
	v_and_b32_e32 v1, v4, v10
	v_and_b32_e32 v2, v5, v11
	v_mul_lo_u32 v2, v2, 24
	v_mul_hi_u32 v4, v1, 24
	v_mul_lo_u32 v1, v1, 24
	v_add_u32_e32 v2, v4, v2
	s_waitcnt vmcnt(0)
	v_add_co_u32_e32 v4, vcc, v8, v1
	v_addc_co_u32_e32 v5, vcc, v9, v2, vcc
	global_load_dwordx2 v[8:9], v[4:5], off glc
	s_waitcnt vmcnt(0)
	global_atomic_cmpswap_x2 v[4:5], v35, v[8:11], s[2:3] offset:24 glc
	s_waitcnt vmcnt(0)
	buffer_invl2
	buffer_wbinvl1_vol
	v_cmp_ne_u64_e32 vcc, v[4:5], v[10:11]
	s_and_saveexec_b64 s[16:17], vcc
	s_cbranch_execz .LBB5_761
; %bb.758:                              ;   in Loop: Header=BB5_3 Depth=1
	s_mov_b64 s[18:19], 0
.LBB5_759:                              ;   Parent Loop BB5_3 Depth=1
                                        ; =>  This Inner Loop Header: Depth=2
	s_sleep 1
	global_load_dwordx2 v[8:9], v35, s[2:3] offset:40
	global_load_dwordx2 v[14:15], v35, s[2:3]
	v_pk_mov_b32 v[10:11], v[4:5], v[4:5] op_sel:[0,1]
	s_waitcnt vmcnt(1)
	v_and_b32_e32 v2, v8, v10
	s_waitcnt vmcnt(0)
	v_mad_u64_u32 v[4:5], s[20:21], v2, 24, v[14:15]
	v_and_b32_e32 v1, v9, v11
	v_mov_b32_e32 v2, v5
	v_mad_u64_u32 v[8:9], s[20:21], v1, 24, v[2:3]
	v_mov_b32_e32 v5, v8
	global_load_dwordx2 v[8:9], v[4:5], off glc
	s_waitcnt vmcnt(0)
	global_atomic_cmpswap_x2 v[4:5], v35, v[8:11], s[2:3] offset:24 glc
	s_waitcnt vmcnt(0)
	buffer_invl2
	buffer_wbinvl1_vol
	v_cmp_eq_u64_e32 vcc, v[4:5], v[10:11]
	s_or_b64 s[18:19], vcc, s[18:19]
	s_andn2_b64 exec, exec, s[18:19]
	s_cbranch_execnz .LBB5_759
; %bb.760:                              ;   in Loop: Header=BB5_3 Depth=1
	s_or_b64 exec, exec, s[18:19]
.LBB5_761:                              ;   in Loop: Header=BB5_3 Depth=1
	s_or_b64 exec, exec, s[16:17]
.LBB5_762:                              ;   in Loop: Header=BB5_3 Depth=1
	s_or_b64 exec, exec, s[14:15]
	global_load_dwordx2 v[14:15], v35, s[2:3] offset:40
	global_load_dwordx4 v[8:11], v35, s[2:3]
	v_readfirstlane_b32 s14, v4
	v_readfirstlane_b32 s15, v5
	s_mov_b64 s[16:17], exec
	s_waitcnt vmcnt(1)
	v_readfirstlane_b32 s18, v14
	v_readfirstlane_b32 s19, v15
	s_and_b64 s[18:19], s[14:15], s[18:19]
	s_mul_i32 s20, s19, 24
	s_mul_hi_u32 s21, s18, 24
	s_mul_i32 s22, s18, 24
	s_add_i32 s20, s21, s20
	v_mov_b32_e32 v1, s20
	s_waitcnt vmcnt(0)
	v_add_co_u32_e32 v16, vcc, s22, v8
	v_addc_co_u32_e32 v17, vcc, v9, v1, vcc
	s_and_saveexec_b64 s[20:21], s[0:1]
	s_cbranch_execz .LBB5_764
; %bb.763:                              ;   in Loop: Header=BB5_3 Depth=1
	v_pk_mov_b32 v[4:5], s[16:17], s[16:17] op_sel:[0,1]
	global_store_dwordx4 v[16:17], v[4:7], off offset:8
.LBB5_764:                              ;   in Loop: Header=BB5_3 Depth=1
	s_or_b64 exec, exec, s[20:21]
	s_lshl_b64 s[16:17], s[18:19], 12
	v_mov_b32_e32 v1, s17
	v_add_co_u32_e32 v4, vcc, s16, v10
	v_addc_co_u32_e32 v1, vcc, v11, v1, vcc
	v_and_or_b32 v12, v12, s29, 32
	v_mov_b32_e32 v14, v3
	v_mov_b32_e32 v15, v3
	v_readfirstlane_b32 s16, v4
	v_readfirstlane_b32 s17, v1
	s_nop 4
	global_store_dwordx4 v49, v[12:15], s[16:17]
	s_nop 0
	v_pk_mov_b32 v[12:13], s[10:11], s[10:11] op_sel:[0,1]
	v_pk_mov_b32 v[10:11], s[8:9], s[8:9] op_sel:[0,1]
	global_store_dwordx4 v49, v[10:13], s[16:17] offset:16
	global_store_dwordx4 v49, v[10:13], s[16:17] offset:32
	global_store_dwordx4 v49, v[10:13], s[16:17] offset:48
	s_and_saveexec_b64 s[16:17], s[0:1]
	s_cbranch_execz .LBB5_772
; %bb.765:                              ;   in Loop: Header=BB5_3 Depth=1
	global_load_dwordx2 v[20:21], v35, s[2:3] offset:32 glc
	global_load_dwordx2 v[10:11], v35, s[2:3] offset:40
	v_mov_b32_e32 v18, s14
	v_mov_b32_e32 v19, s15
	s_waitcnt vmcnt(0)
	v_readfirstlane_b32 s18, v10
	v_readfirstlane_b32 s19, v11
	s_and_b64 s[18:19], s[18:19], s[14:15]
	s_mul_i32 s19, s19, 24
	s_mul_hi_u32 s20, s18, 24
	s_mul_i32 s18, s18, 24
	s_add_i32 s19, s20, s19
	v_mov_b32_e32 v2, s19
	v_add_co_u32_e32 v12, vcc, s18, v8
	v_addc_co_u32_e32 v13, vcc, v9, v2, vcc
	global_store_dwordx2 v[12:13], v[20:21], off
	buffer_wbl2
	s_waitcnt vmcnt(0)
	global_atomic_cmpswap_x2 v[10:11], v35, v[18:21], s[2:3] offset:32 glc
	s_waitcnt vmcnt(0)
	v_cmp_ne_u64_e32 vcc, v[10:11], v[20:21]
	s_and_saveexec_b64 s[18:19], vcc
	s_cbranch_execz .LBB5_768
; %bb.766:                              ;   in Loop: Header=BB5_3 Depth=1
	s_mov_b64 s[20:21], 0
.LBB5_767:                              ;   Parent Loop BB5_3 Depth=1
                                        ; =>  This Inner Loop Header: Depth=2
	s_sleep 1
	global_store_dwordx2 v[12:13], v[10:11], off
	v_mov_b32_e32 v8, s14
	v_mov_b32_e32 v9, s15
	buffer_wbl2
	s_waitcnt vmcnt(0)
	global_atomic_cmpswap_x2 v[8:9], v35, v[8:11], s[2:3] offset:32 glc
	s_waitcnt vmcnt(0)
	v_cmp_eq_u64_e32 vcc, v[8:9], v[10:11]
	s_or_b64 s[20:21], vcc, s[20:21]
	v_pk_mov_b32 v[10:11], v[8:9], v[8:9] op_sel:[0,1]
	s_andn2_b64 exec, exec, s[20:21]
	s_cbranch_execnz .LBB5_767
.LBB5_768:                              ;   in Loop: Header=BB5_3 Depth=1
	s_or_b64 exec, exec, s[18:19]
	global_load_dwordx2 v[8:9], v35, s[2:3] offset:16
	s_mov_b64 s[20:21], exec
	v_mbcnt_lo_u32_b32 v2, s20, 0
	v_mbcnt_hi_u32_b32 v2, s21, v2
	v_cmp_eq_u32_e32 vcc, 0, v2
	s_and_saveexec_b64 s[18:19], vcc
	s_cbranch_execz .LBB5_770
; %bb.769:                              ;   in Loop: Header=BB5_3 Depth=1
	s_bcnt1_i32_b64 s20, s[20:21]
	v_mov_b32_e32 v2, s20
	buffer_wbl2
	s_waitcnt vmcnt(0)
	global_atomic_add_x2 v[8:9], v[2:3], off offset:8
.LBB5_770:                              ;   in Loop: Header=BB5_3 Depth=1
	s_or_b64 exec, exec, s[18:19]
	s_waitcnt vmcnt(0)
	global_load_dwordx2 v[10:11], v[8:9], off offset:16
	s_waitcnt vmcnt(0)
	v_cmp_eq_u64_e32 vcc, 0, v[10:11]
	s_cbranch_vccnz .LBB5_772
; %bb.771:                              ;   in Loop: Header=BB5_3 Depth=1
	global_load_dword v34, v[8:9], off offset:24
	s_waitcnt vmcnt(0)
	v_and_b32_e32 v2, 0xffffff, v34
	v_readfirstlane_b32 m0, v2
	buffer_wbl2
	global_store_dwordx2 v[10:11], v[34:35], off
	s_sendmsg sendmsg(MSG_INTERRUPT)
.LBB5_772:                              ;   in Loop: Header=BB5_3 Depth=1
	s_or_b64 exec, exec, s[16:17]
	v_add_co_u32_e32 v4, vcc, v4, v49
	v_addc_co_u32_e32 v5, vcc, 0, v1, vcc
	s_branch .LBB5_776
.LBB5_773:                              ;   in Loop: Header=BB5_776 Depth=2
	s_or_b64 exec, exec, s[16:17]
	v_readfirstlane_b32 s16, v1
	s_cmp_eq_u32 s16, 0
	s_cbranch_scc1 .LBB5_775
; %bb.774:                              ;   in Loop: Header=BB5_776 Depth=2
	s_sleep 1
	s_cbranch_execnz .LBB5_776
	s_branch .LBB5_778
.LBB5_775:                              ;   in Loop: Header=BB5_3 Depth=1
	s_branch .LBB5_778
.LBB5_776:                              ;   Parent Loop BB5_3 Depth=1
                                        ; =>  This Inner Loop Header: Depth=2
	v_mov_b32_e32 v1, 1
	s_and_saveexec_b64 s[16:17], s[0:1]
	s_cbranch_execz .LBB5_773
; %bb.777:                              ;   in Loop: Header=BB5_776 Depth=2
	global_load_dword v1, v[16:17], off offset:20 glc
	s_waitcnt vmcnt(0)
	buffer_invl2
	buffer_wbinvl1_vol
	v_and_b32_e32 v1, 1, v1
	s_branch .LBB5_773
.LBB5_778:                              ;   in Loop: Header=BB5_3 Depth=1
	global_load_dwordx2 v[8:9], v[4:5], off
	s_and_saveexec_b64 s[16:17], s[0:1]
	s_cbranch_execz .LBB5_782
; %bb.779:                              ;   in Loop: Header=BB5_3 Depth=1
	global_load_dwordx2 v[4:5], v35, s[2:3] offset:40
	global_load_dwordx2 v[14:15], v35, s[2:3] offset:24 glc
	global_load_dwordx2 v[16:17], v35, s[2:3]
	v_mov_b32_e32 v1, s15
	s_waitcnt vmcnt(2)
	v_add_co_u32_e32 v2, vcc, 1, v4
	v_addc_co_u32_e32 v13, vcc, 0, v5, vcc
	v_add_co_u32_e32 v10, vcc, s14, v2
	v_addc_co_u32_e32 v11, vcc, v13, v1, vcc
	v_cmp_eq_u64_e32 vcc, 0, v[10:11]
	v_cndmask_b32_e32 v11, v11, v13, vcc
	v_cndmask_b32_e32 v10, v10, v2, vcc
	v_and_b32_e32 v1, v11, v5
	v_and_b32_e32 v2, v10, v4
	v_mul_lo_u32 v1, v1, 24
	v_mul_hi_u32 v4, v2, 24
	v_mul_lo_u32 v2, v2, 24
	v_add_u32_e32 v1, v4, v1
	s_waitcnt vmcnt(0)
	v_add_co_u32_e32 v4, vcc, v16, v2
	v_addc_co_u32_e32 v5, vcc, v17, v1, vcc
	v_mov_b32_e32 v12, v14
	global_store_dwordx2 v[4:5], v[14:15], off
	v_mov_b32_e32 v13, v15
	buffer_wbl2
	s_waitcnt vmcnt(0)
	global_atomic_cmpswap_x2 v[12:13], v35, v[10:13], s[2:3] offset:24 glc
	s_waitcnt vmcnt(0)
	v_cmp_ne_u64_e32 vcc, v[12:13], v[14:15]
	s_and_b64 exec, exec, vcc
	s_cbranch_execz .LBB5_782
; %bb.780:                              ;   in Loop: Header=BB5_3 Depth=1
	s_mov_b64 s[0:1], 0
.LBB5_781:                              ;   Parent Loop BB5_3 Depth=1
                                        ; =>  This Inner Loop Header: Depth=2
	s_sleep 1
	global_store_dwordx2 v[4:5], v[12:13], off
	buffer_wbl2
	s_waitcnt vmcnt(0)
	global_atomic_cmpswap_x2 v[14:15], v35, v[10:13], s[2:3] offset:24 glc
	s_waitcnt vmcnt(0)
	v_cmp_eq_u64_e32 vcc, v[14:15], v[12:13]
	s_or_b64 s[0:1], vcc, s[0:1]
	v_pk_mov_b32 v[12:13], v[14:15], v[14:15] op_sel:[0,1]
	s_andn2_b64 exec, exec, s[0:1]
	s_cbranch_execnz .LBB5_781
.LBB5_782:                              ;   in Loop: Header=BB5_3 Depth=1
	s_or_b64 exec, exec, s[16:17]
	s_and_b64 vcc, exec, s[12:13]
	s_cbranch_vccnz .LBB5_671
.LBB5_783:                              ;   in Loop: Header=BB5_3 Depth=1
                                        ; implicit-def: $vgpr10_vgpr11
	s_cbranch_execz .LBB5_811
; %bb.784:                              ;   in Loop: Header=BB5_3 Depth=1
	v_readfirstlane_b32 s0, v32
	v_cmp_eq_u32_e64 s[0:1], s0, v32
	v_pk_mov_b32 v[4:5], 0, 0
	s_and_saveexec_b64 s[14:15], s[0:1]
	s_cbranch_execz .LBB5_790
; %bb.785:                              ;   in Loop: Header=BB5_3 Depth=1
	global_load_dwordx2 v[12:13], v35, s[2:3] offset:24 glc
	s_waitcnt vmcnt(0)
	buffer_invl2
	buffer_wbinvl1_vol
	global_load_dwordx2 v[4:5], v35, s[2:3] offset:40
	global_load_dwordx2 v[10:11], v35, s[2:3]
	s_waitcnt vmcnt(1)
	v_and_b32_e32 v1, v4, v12
	v_and_b32_e32 v2, v5, v13
	v_mul_lo_u32 v2, v2, 24
	v_mul_hi_u32 v4, v1, 24
	v_mul_lo_u32 v1, v1, 24
	v_add_u32_e32 v2, v4, v2
	s_waitcnt vmcnt(0)
	v_add_co_u32_e32 v4, vcc, v10, v1
	v_addc_co_u32_e32 v5, vcc, v11, v2, vcc
	global_load_dwordx2 v[10:11], v[4:5], off glc
	s_waitcnt vmcnt(0)
	global_atomic_cmpswap_x2 v[4:5], v35, v[10:13], s[2:3] offset:24 glc
	s_waitcnt vmcnt(0)
	buffer_invl2
	buffer_wbinvl1_vol
	v_cmp_ne_u64_e32 vcc, v[4:5], v[12:13]
	s_and_saveexec_b64 s[16:17], vcc
	s_cbranch_execz .LBB5_789
; %bb.786:                              ;   in Loop: Header=BB5_3 Depth=1
	s_mov_b64 s[18:19], 0
.LBB5_787:                              ;   Parent Loop BB5_3 Depth=1
                                        ; =>  This Inner Loop Header: Depth=2
	s_sleep 1
	global_load_dwordx2 v[10:11], v35, s[2:3] offset:40
	global_load_dwordx2 v[14:15], v35, s[2:3]
	v_pk_mov_b32 v[12:13], v[4:5], v[4:5] op_sel:[0,1]
	s_waitcnt vmcnt(1)
	v_and_b32_e32 v2, v10, v12
	s_waitcnt vmcnt(0)
	v_mad_u64_u32 v[4:5], s[20:21], v2, 24, v[14:15]
	v_and_b32_e32 v1, v11, v13
	v_mov_b32_e32 v2, v5
	v_mad_u64_u32 v[10:11], s[20:21], v1, 24, v[2:3]
	v_mov_b32_e32 v5, v10
	global_load_dwordx2 v[10:11], v[4:5], off glc
	s_waitcnt vmcnt(0)
	global_atomic_cmpswap_x2 v[4:5], v35, v[10:13], s[2:3] offset:24 glc
	s_waitcnt vmcnt(0)
	buffer_invl2
	buffer_wbinvl1_vol
	v_cmp_eq_u64_e32 vcc, v[4:5], v[12:13]
	s_or_b64 s[18:19], vcc, s[18:19]
	s_andn2_b64 exec, exec, s[18:19]
	s_cbranch_execnz .LBB5_787
; %bb.788:                              ;   in Loop: Header=BB5_3 Depth=1
	s_or_b64 exec, exec, s[18:19]
.LBB5_789:                              ;   in Loop: Header=BB5_3 Depth=1
	s_or_b64 exec, exec, s[16:17]
.LBB5_790:                              ;   in Loop: Header=BB5_3 Depth=1
	s_or_b64 exec, exec, s[14:15]
	global_load_dwordx2 v[10:11], v35, s[2:3] offset:40
	global_load_dwordx4 v[12:15], v35, s[2:3]
	v_readfirstlane_b32 s14, v4
	v_readfirstlane_b32 s15, v5
	s_mov_b64 s[16:17], exec
	s_waitcnt vmcnt(1)
	v_readfirstlane_b32 s18, v10
	v_readfirstlane_b32 s19, v11
	s_and_b64 s[18:19], s[14:15], s[18:19]
	s_mul_i32 s20, s19, 24
	s_mul_hi_u32 s21, s18, 24
	s_mul_i32 s22, s18, 24
	s_add_i32 s20, s21, s20
	v_mov_b32_e32 v1, s20
	s_waitcnt vmcnt(0)
	v_add_co_u32_e32 v16, vcc, s22, v12
	v_addc_co_u32_e32 v17, vcc, v13, v1, vcc
	s_and_saveexec_b64 s[20:21], s[0:1]
	s_cbranch_execz .LBB5_792
; %bb.791:                              ;   in Loop: Header=BB5_3 Depth=1
	v_pk_mov_b32 v[4:5], s[16:17], s[16:17] op_sel:[0,1]
	global_store_dwordx4 v[16:17], v[4:7], off offset:8
.LBB5_792:                              ;   in Loop: Header=BB5_3 Depth=1
	s_or_b64 exec, exec, s[20:21]
	s_lshl_b64 s[16:17], s[18:19], 12
	v_mov_b32_e32 v1, s17
	v_add_co_u32_e32 v4, vcc, s16, v14
	v_addc_co_u32_e32 v1, vcc, v15, v1, vcc
	v_and_or_b32 v8, v8, s29, 32
	v_mov_b32_e32 v10, v3
	v_mov_b32_e32 v11, v3
	v_readfirstlane_b32 s16, v4
	v_readfirstlane_b32 s17, v1
	s_nop 4
	global_store_dwordx4 v49, v[8:11], s[16:17]
	s_nop 0
	v_pk_mov_b32 v[8:9], s[8:9], s[8:9] op_sel:[0,1]
	v_pk_mov_b32 v[10:11], s[10:11], s[10:11] op_sel:[0,1]
	global_store_dwordx4 v49, v[8:11], s[16:17] offset:16
	global_store_dwordx4 v49, v[8:11], s[16:17] offset:32
	;; [unrolled: 1-line block ×3, first 2 shown]
	s_and_saveexec_b64 s[16:17], s[0:1]
	s_cbranch_execz .LBB5_800
; %bb.793:                              ;   in Loop: Header=BB5_3 Depth=1
	global_load_dwordx2 v[20:21], v35, s[2:3] offset:32 glc
	global_load_dwordx2 v[8:9], v35, s[2:3] offset:40
	v_mov_b32_e32 v18, s14
	v_mov_b32_e32 v19, s15
	s_waitcnt vmcnt(0)
	v_readfirstlane_b32 s18, v8
	v_readfirstlane_b32 s19, v9
	s_and_b64 s[18:19], s[18:19], s[14:15]
	s_mul_i32 s19, s19, 24
	s_mul_hi_u32 s20, s18, 24
	s_mul_i32 s18, s18, 24
	s_add_i32 s19, s20, s19
	v_mov_b32_e32 v2, s19
	v_add_co_u32_e32 v12, vcc, s18, v12
	v_addc_co_u32_e32 v13, vcc, v13, v2, vcc
	global_store_dwordx2 v[12:13], v[20:21], off
	buffer_wbl2
	s_waitcnt vmcnt(0)
	global_atomic_cmpswap_x2 v[10:11], v35, v[18:21], s[2:3] offset:32 glc
	s_waitcnt vmcnt(0)
	v_cmp_ne_u64_e32 vcc, v[10:11], v[20:21]
	s_and_saveexec_b64 s[18:19], vcc
	s_cbranch_execz .LBB5_796
; %bb.794:                              ;   in Loop: Header=BB5_3 Depth=1
	s_mov_b64 s[20:21], 0
.LBB5_795:                              ;   Parent Loop BB5_3 Depth=1
                                        ; =>  This Inner Loop Header: Depth=2
	s_sleep 1
	global_store_dwordx2 v[12:13], v[10:11], off
	v_mov_b32_e32 v8, s14
	v_mov_b32_e32 v9, s15
	buffer_wbl2
	s_waitcnt vmcnt(0)
	global_atomic_cmpswap_x2 v[8:9], v35, v[8:11], s[2:3] offset:32 glc
	s_waitcnt vmcnt(0)
	v_cmp_eq_u64_e32 vcc, v[8:9], v[10:11]
	s_or_b64 s[20:21], vcc, s[20:21]
	v_pk_mov_b32 v[10:11], v[8:9], v[8:9] op_sel:[0,1]
	s_andn2_b64 exec, exec, s[20:21]
	s_cbranch_execnz .LBB5_795
.LBB5_796:                              ;   in Loop: Header=BB5_3 Depth=1
	s_or_b64 exec, exec, s[18:19]
	global_load_dwordx2 v[8:9], v35, s[2:3] offset:16
	s_mov_b64 s[20:21], exec
	v_mbcnt_lo_u32_b32 v2, s20, 0
	v_mbcnt_hi_u32_b32 v2, s21, v2
	v_cmp_eq_u32_e32 vcc, 0, v2
	s_and_saveexec_b64 s[18:19], vcc
	s_cbranch_execz .LBB5_798
; %bb.797:                              ;   in Loop: Header=BB5_3 Depth=1
	s_bcnt1_i32_b64 s20, s[20:21]
	v_mov_b32_e32 v2, s20
	buffer_wbl2
	s_waitcnt vmcnt(0)
	global_atomic_add_x2 v[8:9], v[2:3], off offset:8
.LBB5_798:                              ;   in Loop: Header=BB5_3 Depth=1
	s_or_b64 exec, exec, s[18:19]
	s_waitcnt vmcnt(0)
	global_load_dwordx2 v[10:11], v[8:9], off offset:16
	s_waitcnt vmcnt(0)
	v_cmp_eq_u64_e32 vcc, 0, v[10:11]
	s_cbranch_vccnz .LBB5_800
; %bb.799:                              ;   in Loop: Header=BB5_3 Depth=1
	global_load_dword v34, v[8:9], off offset:24
	s_waitcnt vmcnt(0)
	v_and_b32_e32 v2, 0xffffff, v34
	v_readfirstlane_b32 m0, v2
	buffer_wbl2
	global_store_dwordx2 v[10:11], v[34:35], off
	s_sendmsg sendmsg(MSG_INTERRUPT)
.LBB5_800:                              ;   in Loop: Header=BB5_3 Depth=1
	s_or_b64 exec, exec, s[16:17]
	v_add_co_u32_e32 v4, vcc, v4, v49
	v_addc_co_u32_e32 v5, vcc, 0, v1, vcc
	s_branch .LBB5_804
.LBB5_801:                              ;   in Loop: Header=BB5_804 Depth=2
	s_or_b64 exec, exec, s[16:17]
	v_readfirstlane_b32 s16, v1
	s_cmp_eq_u32 s16, 0
	s_cbranch_scc1 .LBB5_803
; %bb.802:                              ;   in Loop: Header=BB5_804 Depth=2
	s_sleep 1
	s_cbranch_execnz .LBB5_804
	s_branch .LBB5_806
.LBB5_803:                              ;   in Loop: Header=BB5_3 Depth=1
	s_branch .LBB5_806
.LBB5_804:                              ;   Parent Loop BB5_3 Depth=1
                                        ; =>  This Inner Loop Header: Depth=2
	v_mov_b32_e32 v1, 1
	s_and_saveexec_b64 s[16:17], s[0:1]
	s_cbranch_execz .LBB5_801
; %bb.805:                              ;   in Loop: Header=BB5_804 Depth=2
	global_load_dword v1, v[16:17], off offset:20 glc
	s_waitcnt vmcnt(0)
	buffer_invl2
	buffer_wbinvl1_vol
	v_and_b32_e32 v1, 1, v1
	s_branch .LBB5_801
.LBB5_806:                              ;   in Loop: Header=BB5_3 Depth=1
	global_load_dwordx2 v[10:11], v[4:5], off
	s_and_saveexec_b64 s[16:17], s[0:1]
	s_cbranch_execz .LBB5_810
; %bb.807:                              ;   in Loop: Header=BB5_3 Depth=1
	global_load_dwordx2 v[4:5], v35, s[2:3] offset:40
	global_load_dwordx2 v[8:9], v35, s[2:3] offset:24 glc
	global_load_dwordx2 v[16:17], v35, s[2:3]
	v_mov_b32_e32 v1, s15
	s_waitcnt vmcnt(2)
	v_add_co_u32_e32 v2, vcc, 1, v4
	v_addc_co_u32_e32 v15, vcc, 0, v5, vcc
	v_add_co_u32_e32 v12, vcc, s14, v2
	v_addc_co_u32_e32 v13, vcc, v15, v1, vcc
	v_cmp_eq_u64_e32 vcc, 0, v[12:13]
	v_cndmask_b32_e32 v13, v13, v15, vcc
	v_cndmask_b32_e32 v12, v12, v2, vcc
	v_and_b32_e32 v1, v13, v5
	v_and_b32_e32 v2, v12, v4
	v_mul_lo_u32 v1, v1, 24
	v_mul_hi_u32 v4, v2, 24
	v_mul_lo_u32 v2, v2, 24
	v_add_u32_e32 v1, v4, v1
	s_waitcnt vmcnt(0)
	v_add_co_u32_e32 v4, vcc, v16, v2
	v_addc_co_u32_e32 v5, vcc, v17, v1, vcc
	v_mov_b32_e32 v14, v8
	global_store_dwordx2 v[4:5], v[8:9], off
	v_mov_b32_e32 v15, v9
	buffer_wbl2
	s_waitcnt vmcnt(0)
	global_atomic_cmpswap_x2 v[14:15], v35, v[12:15], s[2:3] offset:24 glc
	s_waitcnt vmcnt(0)
	v_cmp_ne_u64_e32 vcc, v[14:15], v[8:9]
	s_and_b64 exec, exec, vcc
	s_cbranch_execz .LBB5_810
; %bb.808:                              ;   in Loop: Header=BB5_3 Depth=1
	s_mov_b64 s[0:1], 0
.LBB5_809:                              ;   Parent Loop BB5_3 Depth=1
                                        ; =>  This Inner Loop Header: Depth=2
	s_sleep 1
	global_store_dwordx2 v[4:5], v[14:15], off
	buffer_wbl2
	s_waitcnt vmcnt(0)
	global_atomic_cmpswap_x2 v[8:9], v35, v[12:15], s[2:3] offset:24 glc
	s_waitcnt vmcnt(0)
	v_cmp_eq_u64_e32 vcc, v[8:9], v[14:15]
	s_or_b64 s[0:1], vcc, s[0:1]
	v_pk_mov_b32 v[14:15], v[8:9], v[8:9] op_sel:[0,1]
	s_andn2_b64 exec, exec, s[0:1]
	s_cbranch_execnz .LBB5_809
.LBB5_810:                              ;   in Loop: Header=BB5_3 Depth=1
	s_or_b64 exec, exec, s[16:17]
.LBB5_811:                              ;   in Loop: Header=BB5_3 Depth=1
	v_readfirstlane_b32 s0, v32
	v_cmp_eq_u32_e64 s[0:1], s0, v32
	v_pk_mov_b32 v[4:5], 0, 0
	s_and_saveexec_b64 s[14:15], s[0:1]
	s_cbranch_execz .LBB5_817
; %bb.812:                              ;   in Loop: Header=BB5_3 Depth=1
	global_load_dwordx2 v[14:15], v35, s[2:3] offset:24 glc
	s_waitcnt vmcnt(0)
	buffer_invl2
	buffer_wbinvl1_vol
	global_load_dwordx2 v[4:5], v35, s[2:3] offset:40
	global_load_dwordx2 v[8:9], v35, s[2:3]
	s_waitcnt vmcnt(1)
	v_and_b32_e32 v1, v4, v14
	v_and_b32_e32 v2, v5, v15
	v_mul_lo_u32 v2, v2, 24
	v_mul_hi_u32 v4, v1, 24
	v_mul_lo_u32 v1, v1, 24
	v_add_u32_e32 v2, v4, v2
	s_waitcnt vmcnt(0)
	v_add_co_u32_e32 v4, vcc, v8, v1
	v_addc_co_u32_e32 v5, vcc, v9, v2, vcc
	global_load_dwordx2 v[12:13], v[4:5], off glc
	s_waitcnt vmcnt(0)
	global_atomic_cmpswap_x2 v[4:5], v35, v[12:15], s[2:3] offset:24 glc
	s_waitcnt vmcnt(0)
	buffer_invl2
	buffer_wbinvl1_vol
	v_cmp_ne_u64_e32 vcc, v[4:5], v[14:15]
	s_and_saveexec_b64 s[16:17], vcc
	s_cbranch_execz .LBB5_816
; %bb.813:                              ;   in Loop: Header=BB5_3 Depth=1
	s_mov_b64 s[18:19], 0
.LBB5_814:                              ;   Parent Loop BB5_3 Depth=1
                                        ; =>  This Inner Loop Header: Depth=2
	s_sleep 1
	global_load_dwordx2 v[8:9], v35, s[2:3] offset:40
	global_load_dwordx2 v[12:13], v35, s[2:3]
	v_pk_mov_b32 v[14:15], v[4:5], v[4:5] op_sel:[0,1]
	s_waitcnt vmcnt(1)
	v_and_b32_e32 v2, v8, v14
	s_waitcnt vmcnt(0)
	v_mad_u64_u32 v[4:5], s[20:21], v2, 24, v[12:13]
	v_and_b32_e32 v1, v9, v15
	v_mov_b32_e32 v2, v5
	v_mad_u64_u32 v[8:9], s[20:21], v1, 24, v[2:3]
	v_mov_b32_e32 v5, v8
	global_load_dwordx2 v[12:13], v[4:5], off glc
	s_waitcnt vmcnt(0)
	global_atomic_cmpswap_x2 v[4:5], v35, v[12:15], s[2:3] offset:24 glc
	s_waitcnt vmcnt(0)
	buffer_invl2
	buffer_wbinvl1_vol
	v_cmp_eq_u64_e32 vcc, v[4:5], v[14:15]
	s_or_b64 s[18:19], vcc, s[18:19]
	s_andn2_b64 exec, exec, s[18:19]
	s_cbranch_execnz .LBB5_814
; %bb.815:                              ;   in Loop: Header=BB5_3 Depth=1
	s_or_b64 exec, exec, s[18:19]
.LBB5_816:                              ;   in Loop: Header=BB5_3 Depth=1
	s_or_b64 exec, exec, s[16:17]
.LBB5_817:                              ;   in Loop: Header=BB5_3 Depth=1
	s_or_b64 exec, exec, s[14:15]
	global_load_dwordx2 v[8:9], v35, s[2:3] offset:40
	global_load_dwordx4 v[14:17], v35, s[2:3]
	v_readfirstlane_b32 s14, v4
	v_readfirstlane_b32 s15, v5
	s_mov_b64 s[16:17], exec
	s_waitcnt vmcnt(1)
	v_readfirstlane_b32 s18, v8
	v_readfirstlane_b32 s19, v9
	s_and_b64 s[18:19], s[14:15], s[18:19]
	s_mul_i32 s20, s19, 24
	s_mul_hi_u32 s21, s18, 24
	s_mul_i32 s22, s18, 24
	s_add_i32 s20, s21, s20
	v_mov_b32_e32 v1, s20
	s_waitcnt vmcnt(0)
	v_add_co_u32_e32 v18, vcc, s22, v14
	v_addc_co_u32_e32 v19, vcc, v15, v1, vcc
	s_and_saveexec_b64 s[20:21], s[0:1]
	s_cbranch_execz .LBB5_819
; %bb.818:                              ;   in Loop: Header=BB5_3 Depth=1
	v_pk_mov_b32 v[4:5], s[16:17], s[16:17] op_sel:[0,1]
	global_store_dwordx4 v[18:19], v[4:7], off offset:8
.LBB5_819:                              ;   in Loop: Header=BB5_3 Depth=1
	s_or_b64 exec, exec, s[20:21]
	s_lshl_b64 s[16:17], s[18:19], 12
	v_mov_b32_e32 v1, s17
	v_add_co_u32_e32 v4, vcc, s16, v16
	v_addc_co_u32_e32 v1, vcc, v17, v1, vcc
	v_and_or_b32 v10, v10, s30, 34
	v_mov_b32_e32 v12, v37
	v_mov_b32_e32 v13, v3
	v_readfirstlane_b32 s16, v4
	v_readfirstlane_b32 s17, v1
	s_nop 4
	global_store_dwordx4 v49, v[10:13], s[16:17]
	v_pk_mov_b32 v[8:9], s[8:9], s[8:9] op_sel:[0,1]
	v_pk_mov_b32 v[10:11], s[10:11], s[10:11] op_sel:[0,1]
	global_store_dwordx4 v49, v[8:11], s[16:17] offset:16
	global_store_dwordx4 v49, v[8:11], s[16:17] offset:32
	;; [unrolled: 1-line block ×3, first 2 shown]
	s_and_saveexec_b64 s[16:17], s[0:1]
	s_cbranch_execz .LBB5_827
; %bb.820:                              ;   in Loop: Header=BB5_3 Depth=1
	global_load_dwordx2 v[22:23], v35, s[2:3] offset:32 glc
	global_load_dwordx2 v[8:9], v35, s[2:3] offset:40
	v_mov_b32_e32 v20, s14
	v_mov_b32_e32 v21, s15
	s_waitcnt vmcnt(0)
	v_readfirstlane_b32 s18, v8
	v_readfirstlane_b32 s19, v9
	s_and_b64 s[18:19], s[18:19], s[14:15]
	s_mul_i32 s19, s19, 24
	s_mul_hi_u32 s20, s18, 24
	s_mul_i32 s18, s18, 24
	s_add_i32 s19, s20, s19
	v_mov_b32_e32 v2, s19
	v_add_co_u32_e32 v12, vcc, s18, v14
	v_addc_co_u32_e32 v13, vcc, v15, v2, vcc
	global_store_dwordx2 v[12:13], v[22:23], off
	buffer_wbl2
	s_waitcnt vmcnt(0)
	global_atomic_cmpswap_x2 v[10:11], v35, v[20:23], s[2:3] offset:32 glc
	s_waitcnt vmcnt(0)
	v_cmp_ne_u64_e32 vcc, v[10:11], v[22:23]
	s_and_saveexec_b64 s[18:19], vcc
	s_cbranch_execz .LBB5_823
; %bb.821:                              ;   in Loop: Header=BB5_3 Depth=1
	s_mov_b64 s[20:21], 0
.LBB5_822:                              ;   Parent Loop BB5_3 Depth=1
                                        ; =>  This Inner Loop Header: Depth=2
	s_sleep 1
	global_store_dwordx2 v[12:13], v[10:11], off
	v_mov_b32_e32 v8, s14
	v_mov_b32_e32 v9, s15
	buffer_wbl2
	s_waitcnt vmcnt(0)
	global_atomic_cmpswap_x2 v[8:9], v35, v[8:11], s[2:3] offset:32 glc
	s_waitcnt vmcnt(0)
	v_cmp_eq_u64_e32 vcc, v[8:9], v[10:11]
	s_or_b64 s[20:21], vcc, s[20:21]
	v_pk_mov_b32 v[10:11], v[8:9], v[8:9] op_sel:[0,1]
	s_andn2_b64 exec, exec, s[20:21]
	s_cbranch_execnz .LBB5_822
.LBB5_823:                              ;   in Loop: Header=BB5_3 Depth=1
	s_or_b64 exec, exec, s[18:19]
	global_load_dwordx2 v[8:9], v35, s[2:3] offset:16
	s_mov_b64 s[20:21], exec
	v_mbcnt_lo_u32_b32 v2, s20, 0
	v_mbcnt_hi_u32_b32 v2, s21, v2
	v_cmp_eq_u32_e32 vcc, 0, v2
	s_and_saveexec_b64 s[18:19], vcc
	s_cbranch_execz .LBB5_825
; %bb.824:                              ;   in Loop: Header=BB5_3 Depth=1
	s_bcnt1_i32_b64 s20, s[20:21]
	v_mov_b32_e32 v2, s20
	buffer_wbl2
	s_waitcnt vmcnt(0)
	global_atomic_add_x2 v[8:9], v[2:3], off offset:8
.LBB5_825:                              ;   in Loop: Header=BB5_3 Depth=1
	s_or_b64 exec, exec, s[18:19]
	s_waitcnt vmcnt(0)
	global_load_dwordx2 v[10:11], v[8:9], off offset:16
	s_waitcnt vmcnt(0)
	v_cmp_eq_u64_e32 vcc, 0, v[10:11]
	s_cbranch_vccnz .LBB5_827
; %bb.826:                              ;   in Loop: Header=BB5_3 Depth=1
	global_load_dword v34, v[8:9], off offset:24
	s_waitcnt vmcnt(0)
	v_and_b32_e32 v2, 0xffffff, v34
	v_readfirstlane_b32 m0, v2
	buffer_wbl2
	global_store_dwordx2 v[10:11], v[34:35], off
	s_sendmsg sendmsg(MSG_INTERRUPT)
.LBB5_827:                              ;   in Loop: Header=BB5_3 Depth=1
	s_or_b64 exec, exec, s[16:17]
	v_add_co_u32_e32 v4, vcc, v4, v49
	v_addc_co_u32_e32 v5, vcc, 0, v1, vcc
	s_branch .LBB5_831
.LBB5_828:                              ;   in Loop: Header=BB5_831 Depth=2
	s_or_b64 exec, exec, s[16:17]
	v_readfirstlane_b32 s16, v1
	s_cmp_eq_u32 s16, 0
	s_cbranch_scc1 .LBB5_830
; %bb.829:                              ;   in Loop: Header=BB5_831 Depth=2
	s_sleep 1
	s_cbranch_execnz .LBB5_831
	s_branch .LBB5_833
.LBB5_830:                              ;   in Loop: Header=BB5_3 Depth=1
	s_branch .LBB5_833
.LBB5_831:                              ;   Parent Loop BB5_3 Depth=1
                                        ; =>  This Inner Loop Header: Depth=2
	v_mov_b32_e32 v1, 1
	s_and_saveexec_b64 s[16:17], s[0:1]
	s_cbranch_execz .LBB5_828
; %bb.832:                              ;   in Loop: Header=BB5_831 Depth=2
	global_load_dword v1, v[18:19], off offset:20 glc
	s_waitcnt vmcnt(0)
	buffer_invl2
	buffer_wbinvl1_vol
	v_and_b32_e32 v1, 1, v1
	s_branch .LBB5_828
.LBB5_833:                              ;   in Loop: Header=BB5_3 Depth=1
	global_load_dwordx2 v[40:41], v[4:5], off
	s_and_saveexec_b64 s[16:17], s[0:1]
	s_cbranch_execz .LBB5_837
; %bb.834:                              ;   in Loop: Header=BB5_3 Depth=1
	global_load_dwordx2 v[4:5], v35, s[2:3] offset:40
	global_load_dwordx2 v[12:13], v35, s[2:3] offset:24 glc
	global_load_dwordx2 v[14:15], v35, s[2:3]
	v_mov_b32_e32 v1, s15
	s_waitcnt vmcnt(2)
	v_add_co_u32_e32 v2, vcc, 1, v4
	v_addc_co_u32_e32 v11, vcc, 0, v5, vcc
	v_add_co_u32_e32 v8, vcc, s14, v2
	v_addc_co_u32_e32 v9, vcc, v11, v1, vcc
	v_cmp_eq_u64_e32 vcc, 0, v[8:9]
	v_cndmask_b32_e32 v9, v9, v11, vcc
	v_cndmask_b32_e32 v8, v8, v2, vcc
	v_and_b32_e32 v1, v9, v5
	v_and_b32_e32 v2, v8, v4
	v_mul_lo_u32 v1, v1, 24
	v_mul_hi_u32 v4, v2, 24
	v_mul_lo_u32 v2, v2, 24
	v_add_u32_e32 v1, v4, v1
	s_waitcnt vmcnt(0)
	v_add_co_u32_e32 v4, vcc, v14, v2
	v_addc_co_u32_e32 v5, vcc, v15, v1, vcc
	v_mov_b32_e32 v10, v12
	global_store_dwordx2 v[4:5], v[12:13], off
	v_mov_b32_e32 v11, v13
	buffer_wbl2
	s_waitcnt vmcnt(0)
	global_atomic_cmpswap_x2 v[10:11], v35, v[8:11], s[2:3] offset:24 glc
	s_waitcnt vmcnt(0)
	v_cmp_ne_u64_e32 vcc, v[10:11], v[12:13]
	s_and_b64 exec, exec, vcc
	s_cbranch_execz .LBB5_837
; %bb.835:                              ;   in Loop: Header=BB5_3 Depth=1
	s_mov_b64 s[0:1], 0
.LBB5_836:                              ;   Parent Loop BB5_3 Depth=1
                                        ; =>  This Inner Loop Header: Depth=2
	s_sleep 1
	global_store_dwordx2 v[4:5], v[10:11], off
	buffer_wbl2
	s_waitcnt vmcnt(0)
	global_atomic_cmpswap_x2 v[12:13], v35, v[8:11], s[2:3] offset:24 glc
	s_waitcnt vmcnt(0)
	v_cmp_eq_u64_e32 vcc, v[12:13], v[10:11]
	s_or_b64 s[0:1], vcc, s[0:1]
	v_pk_mov_b32 v[10:11], v[12:13], v[12:13] op_sel:[0,1]
	s_andn2_b64 exec, exec, s[0:1]
	s_cbranch_execnz .LBB5_836
.LBB5_837:                              ;   in Loop: Header=BB5_3 Depth=1
	s_or_b64 exec, exec, s[16:17]
	ds_read_b32 v1, v47
	v_readfirstlane_b32 s0, v32
	v_cmp_eq_u32_e64 s[0:1], s0, v32
	v_pk_mov_b32 v[4:5], 0, 0
	s_waitcnt lgkmcnt(0)
	v_and_b32_e32 v37, 0xffff, v1
	ds_write_b32 v31, v37
	s_and_saveexec_b64 s[14:15], s[0:1]
	s_cbranch_execz .LBB5_843
; %bb.838:                              ;   in Loop: Header=BB5_3 Depth=1
	global_load_dwordx2 v[10:11], v35, s[2:3] offset:24 glc
	s_waitcnt vmcnt(0)
	buffer_invl2
	buffer_wbinvl1_vol
	global_load_dwordx2 v[4:5], v35, s[2:3] offset:40
	global_load_dwordx2 v[8:9], v35, s[2:3]
	s_waitcnt vmcnt(1)
	v_and_b32_e32 v1, v4, v10
	v_and_b32_e32 v2, v5, v11
	v_mul_lo_u32 v2, v2, 24
	v_mul_hi_u32 v4, v1, 24
	v_mul_lo_u32 v1, v1, 24
	v_add_u32_e32 v2, v4, v2
	s_waitcnt vmcnt(0)
	v_add_co_u32_e32 v4, vcc, v8, v1
	v_addc_co_u32_e32 v5, vcc, v9, v2, vcc
	global_load_dwordx2 v[8:9], v[4:5], off glc
	s_waitcnt vmcnt(0)
	global_atomic_cmpswap_x2 v[4:5], v35, v[8:11], s[2:3] offset:24 glc
	s_waitcnt vmcnt(0)
	buffer_invl2
	buffer_wbinvl1_vol
	v_cmp_ne_u64_e32 vcc, v[4:5], v[10:11]
	s_and_saveexec_b64 s[16:17], vcc
	s_cbranch_execz .LBB5_842
; %bb.839:                              ;   in Loop: Header=BB5_3 Depth=1
	s_mov_b64 s[18:19], 0
.LBB5_840:                              ;   Parent Loop BB5_3 Depth=1
                                        ; =>  This Inner Loop Header: Depth=2
	s_sleep 1
	global_load_dwordx2 v[8:9], v35, s[2:3] offset:40
	global_load_dwordx2 v[12:13], v35, s[2:3]
	v_pk_mov_b32 v[10:11], v[4:5], v[4:5] op_sel:[0,1]
	s_waitcnt vmcnt(1)
	v_and_b32_e32 v2, v8, v10
	s_waitcnt vmcnt(0)
	v_mad_u64_u32 v[4:5], s[20:21], v2, 24, v[12:13]
	v_and_b32_e32 v1, v9, v11
	v_mov_b32_e32 v2, v5
	v_mad_u64_u32 v[8:9], s[20:21], v1, 24, v[2:3]
	v_mov_b32_e32 v5, v8
	global_load_dwordx2 v[8:9], v[4:5], off glc
	s_waitcnt vmcnt(0)
	global_atomic_cmpswap_x2 v[4:5], v35, v[8:11], s[2:3] offset:24 glc
	s_waitcnt vmcnt(0)
	buffer_invl2
	buffer_wbinvl1_vol
	v_cmp_eq_u64_e32 vcc, v[4:5], v[10:11]
	s_or_b64 s[18:19], vcc, s[18:19]
	s_andn2_b64 exec, exec, s[18:19]
	s_cbranch_execnz .LBB5_840
; %bb.841:                              ;   in Loop: Header=BB5_3 Depth=1
	s_or_b64 exec, exec, s[18:19]
.LBB5_842:                              ;   in Loop: Header=BB5_3 Depth=1
	s_or_b64 exec, exec, s[16:17]
.LBB5_843:                              ;   in Loop: Header=BB5_3 Depth=1
	s_or_b64 exec, exec, s[14:15]
	global_load_dwordx2 v[12:13], v35, s[2:3] offset:40
	global_load_dwordx4 v[8:11], v35, s[2:3]
	v_readfirstlane_b32 s14, v4
	v_readfirstlane_b32 s15, v5
	s_mov_b64 s[16:17], exec
	s_waitcnt vmcnt(1)
	v_readfirstlane_b32 s18, v12
	v_readfirstlane_b32 s19, v13
	s_and_b64 s[18:19], s[14:15], s[18:19]
	s_mul_i32 s20, s19, 24
	s_mul_hi_u32 s21, s18, 24
	s_mul_i32 s22, s18, 24
	s_add_i32 s20, s21, s20
	v_mov_b32_e32 v1, s20
	s_waitcnt vmcnt(0)
	v_add_co_u32_e32 v12, vcc, s22, v8
	v_addc_co_u32_e32 v13, vcc, v9, v1, vcc
	s_and_saveexec_b64 s[20:21], s[0:1]
	s_cbranch_execz .LBB5_845
; %bb.844:                              ;   in Loop: Header=BB5_3 Depth=1
	v_pk_mov_b32 v[4:5], s[16:17], s[16:17] op_sel:[0,1]
	global_store_dwordx4 v[12:13], v[4:7], off offset:8
.LBB5_845:                              ;   in Loop: Header=BB5_3 Depth=1
	s_or_b64 exec, exec, s[20:21]
	s_lshl_b64 s[16:17], s[18:19], 12
	v_mov_b32_e32 v1, s17
	v_add_co_u32_e32 v4, vcc, s16, v10
	v_addc_co_u32_e32 v5, vcc, v11, v1, vcc
	v_pk_mov_b32 v[16:17], s[10:11], s[10:11] op_sel:[0,1]
	v_mov_b32_e32 v1, v3
	v_mov_b32_e32 v2, v3
	v_readfirstlane_b32 s16, v4
	v_readfirstlane_b32 s17, v5
	v_pk_mov_b32 v[14:15], s[8:9], s[8:9] op_sel:[0,1]
	s_nop 3
	global_store_dwordx4 v49, v[0:3], s[16:17]
	global_store_dwordx4 v49, v[14:17], s[16:17] offset:16
	global_store_dwordx4 v49, v[14:17], s[16:17] offset:32
	;; [unrolled: 1-line block ×3, first 2 shown]
	s_and_saveexec_b64 s[16:17], s[0:1]
	s_cbranch_execz .LBB5_853
; %bb.846:                              ;   in Loop: Header=BB5_3 Depth=1
	global_load_dwordx2 v[18:19], v35, s[2:3] offset:32 glc
	global_load_dwordx2 v[10:11], v35, s[2:3] offset:40
	v_mov_b32_e32 v16, s14
	v_mov_b32_e32 v17, s15
	s_waitcnt vmcnt(0)
	v_readfirstlane_b32 s18, v10
	v_readfirstlane_b32 s19, v11
	s_and_b64 s[18:19], s[18:19], s[14:15]
	s_mul_i32 s19, s19, 24
	s_mul_hi_u32 s20, s18, 24
	s_mul_i32 s18, s18, 24
	s_add_i32 s19, s20, s19
	v_mov_b32_e32 v1, s19
	v_add_co_u32_e32 v14, vcc, s18, v8
	v_addc_co_u32_e32 v15, vcc, v9, v1, vcc
	global_store_dwordx2 v[14:15], v[18:19], off
	buffer_wbl2
	s_waitcnt vmcnt(0)
	global_atomic_cmpswap_x2 v[10:11], v35, v[16:19], s[2:3] offset:32 glc
	s_waitcnt vmcnt(0)
	v_cmp_ne_u64_e32 vcc, v[10:11], v[18:19]
	s_and_saveexec_b64 s[18:19], vcc
	s_cbranch_execz .LBB5_849
; %bb.847:                              ;   in Loop: Header=BB5_3 Depth=1
	s_mov_b64 s[20:21], 0
.LBB5_848:                              ;   Parent Loop BB5_3 Depth=1
                                        ; =>  This Inner Loop Header: Depth=2
	s_sleep 1
	global_store_dwordx2 v[14:15], v[10:11], off
	v_mov_b32_e32 v8, s14
	v_mov_b32_e32 v9, s15
	buffer_wbl2
	s_waitcnt vmcnt(0)
	global_atomic_cmpswap_x2 v[8:9], v35, v[8:11], s[2:3] offset:32 glc
	s_waitcnt vmcnt(0)
	v_cmp_eq_u64_e32 vcc, v[8:9], v[10:11]
	s_or_b64 s[20:21], vcc, s[20:21]
	v_pk_mov_b32 v[10:11], v[8:9], v[8:9] op_sel:[0,1]
	s_andn2_b64 exec, exec, s[20:21]
	s_cbranch_execnz .LBB5_848
.LBB5_849:                              ;   in Loop: Header=BB5_3 Depth=1
	s_or_b64 exec, exec, s[18:19]
	global_load_dwordx2 v[8:9], v35, s[2:3] offset:16
	s_mov_b64 s[20:21], exec
	v_mbcnt_lo_u32_b32 v1, s20, 0
	v_mbcnt_hi_u32_b32 v1, s21, v1
	v_cmp_eq_u32_e32 vcc, 0, v1
	s_and_saveexec_b64 s[18:19], vcc
	s_cbranch_execz .LBB5_851
; %bb.850:                              ;   in Loop: Header=BB5_3 Depth=1
	s_bcnt1_i32_b64 s20, s[20:21]
	v_mov_b32_e32 v2, s20
	buffer_wbl2
	s_waitcnt vmcnt(0)
	global_atomic_add_x2 v[8:9], v[2:3], off offset:8
.LBB5_851:                              ;   in Loop: Header=BB5_3 Depth=1
	s_or_b64 exec, exec, s[18:19]
	s_waitcnt vmcnt(0)
	global_load_dwordx2 v[10:11], v[8:9], off offset:16
	s_waitcnt vmcnt(0)
	v_cmp_eq_u64_e32 vcc, 0, v[10:11]
	s_cbranch_vccnz .LBB5_853
; %bb.852:                              ;   in Loop: Header=BB5_3 Depth=1
	global_load_dword v34, v[8:9], off offset:24
	s_waitcnt vmcnt(0)
	v_and_b32_e32 v1, 0xffffff, v34
	v_readfirstlane_b32 m0, v1
	buffer_wbl2
	global_store_dwordx2 v[10:11], v[34:35], off
	s_sendmsg sendmsg(MSG_INTERRUPT)
.LBB5_853:                              ;   in Loop: Header=BB5_3 Depth=1
	s_or_b64 exec, exec, s[16:17]
	v_add_co_u32_e32 v4, vcc, v4, v49
	v_addc_co_u32_e32 v5, vcc, 0, v5, vcc
	s_branch .LBB5_857
.LBB5_854:                              ;   in Loop: Header=BB5_857 Depth=2
	s_or_b64 exec, exec, s[16:17]
	v_readfirstlane_b32 s16, v1
	s_cmp_eq_u32 s16, 0
	s_cbranch_scc1 .LBB5_856
; %bb.855:                              ;   in Loop: Header=BB5_857 Depth=2
	s_sleep 1
	s_cbranch_execnz .LBB5_857
	s_branch .LBB5_859
.LBB5_856:                              ;   in Loop: Header=BB5_3 Depth=1
	s_branch .LBB5_859
.LBB5_857:                              ;   Parent Loop BB5_3 Depth=1
                                        ; =>  This Inner Loop Header: Depth=2
	v_mov_b32_e32 v1, 1
	s_and_saveexec_b64 s[16:17], s[0:1]
	s_cbranch_execz .LBB5_854
; %bb.858:                              ;   in Loop: Header=BB5_857 Depth=2
	global_load_dword v1, v[12:13], off offset:20 glc
	s_waitcnt vmcnt(0)
	buffer_invl2
	buffer_wbinvl1_vol
	v_and_b32_e32 v1, 1, v1
	s_branch .LBB5_854
.LBB5_859:                              ;   in Loop: Header=BB5_3 Depth=1
	global_load_dwordx2 v[12:13], v[4:5], off
	s_and_saveexec_b64 s[16:17], s[0:1]
	s_cbranch_execz .LBB5_863
; %bb.860:                              ;   in Loop: Header=BB5_3 Depth=1
	global_load_dwordx2 v[4:5], v35, s[2:3] offset:40
	global_load_dwordx2 v[14:15], v35, s[2:3] offset:24 glc
	global_load_dwordx2 v[16:17], v35, s[2:3]
	v_mov_b32_e32 v1, s15
	s_waitcnt vmcnt(2)
	v_add_co_u32_e32 v2, vcc, 1, v4
	v_addc_co_u32_e32 v11, vcc, 0, v5, vcc
	v_add_co_u32_e32 v8, vcc, s14, v2
	v_addc_co_u32_e32 v9, vcc, v11, v1, vcc
	v_cmp_eq_u64_e32 vcc, 0, v[8:9]
	v_cndmask_b32_e32 v9, v9, v11, vcc
	v_cndmask_b32_e32 v8, v8, v2, vcc
	v_and_b32_e32 v1, v9, v5
	v_and_b32_e32 v2, v8, v4
	v_mul_lo_u32 v1, v1, 24
	v_mul_hi_u32 v4, v2, 24
	v_mul_lo_u32 v2, v2, 24
	v_add_u32_e32 v1, v4, v1
	s_waitcnt vmcnt(0)
	v_add_co_u32_e32 v4, vcc, v16, v2
	v_addc_co_u32_e32 v5, vcc, v17, v1, vcc
	v_mov_b32_e32 v10, v14
	global_store_dwordx2 v[4:5], v[14:15], off
	v_mov_b32_e32 v11, v15
	buffer_wbl2
	s_waitcnt vmcnt(0)
	global_atomic_cmpswap_x2 v[10:11], v35, v[8:11], s[2:3] offset:24 glc
	s_waitcnt vmcnt(0)
	v_cmp_ne_u64_e32 vcc, v[10:11], v[14:15]
	s_and_b64 exec, exec, vcc
	s_cbranch_execz .LBB5_863
; %bb.861:                              ;   in Loop: Header=BB5_3 Depth=1
	s_mov_b64 s[0:1], 0
.LBB5_862:                              ;   Parent Loop BB5_3 Depth=1
                                        ; =>  This Inner Loop Header: Depth=2
	s_sleep 1
	global_store_dwordx2 v[4:5], v[10:11], off
	buffer_wbl2
	s_waitcnt vmcnt(0)
	global_atomic_cmpswap_x2 v[14:15], v35, v[8:11], s[2:3] offset:24 glc
	s_waitcnt vmcnt(0)
	v_cmp_eq_u64_e32 vcc, v[14:15], v[10:11]
	s_or_b64 s[0:1], vcc, s[0:1]
	v_pk_mov_b32 v[10:11], v[14:15], v[14:15] op_sel:[0,1]
	s_andn2_b64 exec, exec, s[0:1]
	s_cbranch_execnz .LBB5_862
.LBB5_863:                              ;   in Loop: Header=BB5_3 Depth=1
	s_or_b64 exec, exec, s[16:17]
	s_and_b64 vcc, exec, s[4:5]
	s_cbranch_vccz .LBB5_1033
; %bb.864:                              ;   in Loop: Header=BB5_3 Depth=1
	s_waitcnt vmcnt(0)
	v_and_b32_e32 v42, 2, v12
	v_and_b32_e32 v8, -3, v12
	v_mov_b32_e32 v9, v13
	s_mov_b64 s[16:17], 6
	s_getpc_b64 s[14:15]
	s_add_u32 s14, s14, .str.7@rel32@lo+4
	s_addc_u32 s15, s15, .str.7@rel32@hi+12
	s_branch .LBB5_866
.LBB5_865:                              ;   in Loop: Header=BB5_866 Depth=2
	s_or_b64 exec, exec, s[22:23]
	s_sub_u32 s16, s16, s18
	s_subb_u32 s17, s17, s19
	s_add_u32 s14, s14, s18
	s_addc_u32 s15, s15, s19
	s_cmp_lg_u64 s[16:17], 0
	s_cbranch_scc0 .LBB5_947
.LBB5_866:                              ;   Parent Loop BB5_3 Depth=1
                                        ; =>  This Loop Header: Depth=2
                                        ;       Child Loop BB5_869 Depth 3
                                        ;       Child Loop BB5_876 Depth 3
	;; [unrolled: 1-line block ×11, first 2 shown]
	v_cmp_lt_u64_e64 s[0:1], s[16:17], 56
	s_and_b64 s[0:1], s[0:1], exec
	v_cmp_gt_u64_e64 s[0:1], s[16:17], 7
	s_cselect_b32 s19, s17, 0
	s_cselect_b32 s18, s16, 56
	s_and_b64 vcc, exec, s[0:1]
	s_cbranch_vccnz .LBB5_871
; %bb.867:                              ;   in Loop: Header=BB5_866 Depth=2
	s_mov_b64 s[0:1], 0
	s_cmp_eq_u64 s[16:17], 0
	s_waitcnt vmcnt(0)
	v_pk_mov_b32 v[10:11], 0, 0
	s_cbranch_scc1 .LBB5_870
; %bb.868:                              ;   in Loop: Header=BB5_866 Depth=2
	s_lshl_b64 s[20:21], s[18:19], 3
	s_mov_b64 s[22:23], 0
	v_pk_mov_b32 v[10:11], 0, 0
	s_mov_b64 s[24:25], s[14:15]
.LBB5_869:                              ;   Parent Loop BB5_3 Depth=1
                                        ;     Parent Loop BB5_866 Depth=2
                                        ; =>    This Inner Loop Header: Depth=3
	global_load_ubyte v1, v35, s[24:25]
	s_waitcnt vmcnt(0)
	v_and_b32_e32 v34, 0xffff, v1
	v_lshlrev_b64 v[4:5], s22, v[34:35]
	s_add_u32 s22, s22, 8
	s_addc_u32 s23, s23, 0
	s_add_u32 s24, s24, 1
	s_addc_u32 s25, s25, 0
	v_or_b32_e32 v10, v4, v10
	s_cmp_lg_u32 s20, s22
	v_or_b32_e32 v11, v5, v11
	s_cbranch_scc1 .LBB5_869
.LBB5_870:                              ;   in Loop: Header=BB5_866 Depth=2
	s_mov_b32 s24, 0
	s_andn2_b64 vcc, exec, s[0:1]
	s_mov_b64 s[0:1], s[14:15]
	s_cbranch_vccz .LBB5_872
	s_branch .LBB5_873
.LBB5_871:                              ;   in Loop: Header=BB5_866 Depth=2
                                        ; implicit-def: $vgpr10_vgpr11
                                        ; implicit-def: $sgpr24
	s_mov_b64 s[0:1], s[14:15]
.LBB5_872:                              ;   in Loop: Header=BB5_866 Depth=2
	global_load_dwordx2 v[10:11], v35, s[14:15]
	s_add_i32 s24, s18, -8
	s_add_u32 s0, s14, 8
	s_addc_u32 s1, s15, 0
.LBB5_873:                              ;   in Loop: Header=BB5_866 Depth=2
	s_cmp_gt_u32 s24, 7
	s_cbranch_scc1 .LBB5_877
; %bb.874:                              ;   in Loop: Header=BB5_866 Depth=2
	s_cmp_eq_u32 s24, 0
	s_cbranch_scc1 .LBB5_878
; %bb.875:                              ;   in Loop: Header=BB5_866 Depth=2
	s_mov_b64 s[20:21], 0
	v_pk_mov_b32 v[14:15], 0, 0
	s_mov_b64 s[22:23], 0
.LBB5_876:                              ;   Parent Loop BB5_3 Depth=1
                                        ;     Parent Loop BB5_866 Depth=2
                                        ; =>    This Inner Loop Header: Depth=3
	s_add_u32 s26, s0, s22
	s_addc_u32 s27, s1, s23
	global_load_ubyte v1, v35, s[26:27]
	s_add_u32 s22, s22, 1
	s_addc_u32 s23, s23, 0
	s_waitcnt vmcnt(0)
	v_and_b32_e32 v34, 0xffff, v1
	v_lshlrev_b64 v[4:5], s20, v[34:35]
	s_add_u32 s20, s20, 8
	s_addc_u32 s21, s21, 0
	v_or_b32_e32 v14, v4, v14
	s_cmp_lg_u32 s24, s22
	v_or_b32_e32 v15, v5, v15
	s_cbranch_scc1 .LBB5_876
	s_branch .LBB5_879
.LBB5_877:                              ;   in Loop: Header=BB5_866 Depth=2
                                        ; implicit-def: $vgpr14_vgpr15
                                        ; implicit-def: $sgpr25
	s_branch .LBB5_880
.LBB5_878:                              ;   in Loop: Header=BB5_866 Depth=2
	v_pk_mov_b32 v[14:15], 0, 0
.LBB5_879:                              ;   in Loop: Header=BB5_866 Depth=2
	s_mov_b32 s25, 0
	s_cbranch_execnz .LBB5_881
.LBB5_880:                              ;   in Loop: Header=BB5_866 Depth=2
	global_load_dwordx2 v[14:15], v35, s[0:1]
	s_add_i32 s25, s24, -8
	s_add_u32 s0, s0, 8
	s_addc_u32 s1, s1, 0
.LBB5_881:                              ;   in Loop: Header=BB5_866 Depth=2
	s_cmp_gt_u32 s25, 7
	s_cbranch_scc1 .LBB5_885
; %bb.882:                              ;   in Loop: Header=BB5_866 Depth=2
	s_cmp_eq_u32 s25, 0
	s_cbranch_scc1 .LBB5_886
; %bb.883:                              ;   in Loop: Header=BB5_866 Depth=2
	s_mov_b64 s[20:21], 0
	v_pk_mov_b32 v[16:17], 0, 0
	s_mov_b64 s[22:23], 0
.LBB5_884:                              ;   Parent Loop BB5_3 Depth=1
                                        ;     Parent Loop BB5_866 Depth=2
                                        ; =>    This Inner Loop Header: Depth=3
	s_add_u32 s26, s0, s22
	s_addc_u32 s27, s1, s23
	global_load_ubyte v1, v35, s[26:27]
	s_add_u32 s22, s22, 1
	s_addc_u32 s23, s23, 0
	s_waitcnt vmcnt(0)
	v_and_b32_e32 v34, 0xffff, v1
	v_lshlrev_b64 v[4:5], s20, v[34:35]
	s_add_u32 s20, s20, 8
	s_addc_u32 s21, s21, 0
	v_or_b32_e32 v16, v4, v16
	s_cmp_lg_u32 s25, s22
	v_or_b32_e32 v17, v5, v17
	s_cbranch_scc1 .LBB5_884
	s_branch .LBB5_887
.LBB5_885:                              ;   in Loop: Header=BB5_866 Depth=2
                                        ; implicit-def: $sgpr24
	s_branch .LBB5_888
.LBB5_886:                              ;   in Loop: Header=BB5_866 Depth=2
	v_pk_mov_b32 v[16:17], 0, 0
.LBB5_887:                              ;   in Loop: Header=BB5_866 Depth=2
	s_mov_b32 s24, 0
	s_cbranch_execnz .LBB5_889
.LBB5_888:                              ;   in Loop: Header=BB5_866 Depth=2
	global_load_dwordx2 v[16:17], v35, s[0:1]
	s_add_i32 s24, s25, -8
	s_add_u32 s0, s0, 8
	s_addc_u32 s1, s1, 0
.LBB5_889:                              ;   in Loop: Header=BB5_866 Depth=2
	s_cmp_gt_u32 s24, 7
	s_cbranch_scc1 .LBB5_893
; %bb.890:                              ;   in Loop: Header=BB5_866 Depth=2
	s_cmp_eq_u32 s24, 0
	s_cbranch_scc1 .LBB5_894
; %bb.891:                              ;   in Loop: Header=BB5_866 Depth=2
	s_mov_b64 s[20:21], 0
	v_pk_mov_b32 v[18:19], 0, 0
	s_mov_b64 s[22:23], 0
.LBB5_892:                              ;   Parent Loop BB5_3 Depth=1
                                        ;     Parent Loop BB5_866 Depth=2
                                        ; =>    This Inner Loop Header: Depth=3
	s_add_u32 s26, s0, s22
	s_addc_u32 s27, s1, s23
	global_load_ubyte v1, v35, s[26:27]
	s_add_u32 s22, s22, 1
	s_addc_u32 s23, s23, 0
	s_waitcnt vmcnt(0)
	v_and_b32_e32 v34, 0xffff, v1
	v_lshlrev_b64 v[4:5], s20, v[34:35]
	s_add_u32 s20, s20, 8
	s_addc_u32 s21, s21, 0
	v_or_b32_e32 v18, v4, v18
	s_cmp_lg_u32 s24, s22
	v_or_b32_e32 v19, v5, v19
	s_cbranch_scc1 .LBB5_892
	s_branch .LBB5_895
.LBB5_893:                              ;   in Loop: Header=BB5_866 Depth=2
                                        ; implicit-def: $vgpr18_vgpr19
                                        ; implicit-def: $sgpr25
	s_branch .LBB5_896
.LBB5_894:                              ;   in Loop: Header=BB5_866 Depth=2
	v_pk_mov_b32 v[18:19], 0, 0
.LBB5_895:                              ;   in Loop: Header=BB5_866 Depth=2
	s_mov_b32 s25, 0
	s_cbranch_execnz .LBB5_897
.LBB5_896:                              ;   in Loop: Header=BB5_866 Depth=2
	global_load_dwordx2 v[18:19], v35, s[0:1]
	s_add_i32 s25, s24, -8
	s_add_u32 s0, s0, 8
	s_addc_u32 s1, s1, 0
.LBB5_897:                              ;   in Loop: Header=BB5_866 Depth=2
	s_cmp_gt_u32 s25, 7
	s_cbranch_scc1 .LBB5_901
; %bb.898:                              ;   in Loop: Header=BB5_866 Depth=2
	s_cmp_eq_u32 s25, 0
	s_cbranch_scc1 .LBB5_902
; %bb.899:                              ;   in Loop: Header=BB5_866 Depth=2
	s_mov_b64 s[20:21], 0
	v_pk_mov_b32 v[20:21], 0, 0
	s_mov_b64 s[22:23], 0
.LBB5_900:                              ;   Parent Loop BB5_3 Depth=1
                                        ;     Parent Loop BB5_866 Depth=2
                                        ; =>    This Inner Loop Header: Depth=3
	s_add_u32 s26, s0, s22
	s_addc_u32 s27, s1, s23
	global_load_ubyte v1, v35, s[26:27]
	s_add_u32 s22, s22, 1
	s_addc_u32 s23, s23, 0
	s_waitcnt vmcnt(0)
	v_and_b32_e32 v34, 0xffff, v1
	v_lshlrev_b64 v[4:5], s20, v[34:35]
	s_add_u32 s20, s20, 8
	s_addc_u32 s21, s21, 0
	v_or_b32_e32 v20, v4, v20
	s_cmp_lg_u32 s25, s22
	v_or_b32_e32 v21, v5, v21
	s_cbranch_scc1 .LBB5_900
	s_branch .LBB5_903
.LBB5_901:                              ;   in Loop: Header=BB5_866 Depth=2
                                        ; implicit-def: $sgpr24
	s_branch .LBB5_904
.LBB5_902:                              ;   in Loop: Header=BB5_866 Depth=2
	v_pk_mov_b32 v[20:21], 0, 0
.LBB5_903:                              ;   in Loop: Header=BB5_866 Depth=2
	s_mov_b32 s24, 0
	s_cbranch_execnz .LBB5_905
.LBB5_904:                              ;   in Loop: Header=BB5_866 Depth=2
	global_load_dwordx2 v[20:21], v35, s[0:1]
	s_add_i32 s24, s25, -8
	s_add_u32 s0, s0, 8
	s_addc_u32 s1, s1, 0
.LBB5_905:                              ;   in Loop: Header=BB5_866 Depth=2
	s_cmp_gt_u32 s24, 7
	s_cbranch_scc1 .LBB5_909
; %bb.906:                              ;   in Loop: Header=BB5_866 Depth=2
	s_cmp_eq_u32 s24, 0
	s_cbranch_scc1 .LBB5_910
; %bb.907:                              ;   in Loop: Header=BB5_866 Depth=2
	s_mov_b64 s[20:21], 0
	v_pk_mov_b32 v[22:23], 0, 0
	s_mov_b64 s[22:23], 0
.LBB5_908:                              ;   Parent Loop BB5_3 Depth=1
                                        ;     Parent Loop BB5_866 Depth=2
                                        ; =>    This Inner Loop Header: Depth=3
	s_add_u32 s26, s0, s22
	s_addc_u32 s27, s1, s23
	global_load_ubyte v1, v35, s[26:27]
	s_add_u32 s22, s22, 1
	s_addc_u32 s23, s23, 0
	s_waitcnt vmcnt(0)
	v_and_b32_e32 v34, 0xffff, v1
	v_lshlrev_b64 v[4:5], s20, v[34:35]
	s_add_u32 s20, s20, 8
	s_addc_u32 s21, s21, 0
	v_or_b32_e32 v22, v4, v22
	s_cmp_lg_u32 s24, s22
	v_or_b32_e32 v23, v5, v23
	s_cbranch_scc1 .LBB5_908
	s_branch .LBB5_911
.LBB5_909:                              ;   in Loop: Header=BB5_866 Depth=2
                                        ; implicit-def: $vgpr22_vgpr23
                                        ; implicit-def: $sgpr25
	s_branch .LBB5_912
.LBB5_910:                              ;   in Loop: Header=BB5_866 Depth=2
	v_pk_mov_b32 v[22:23], 0, 0
.LBB5_911:                              ;   in Loop: Header=BB5_866 Depth=2
	s_mov_b32 s25, 0
	s_cbranch_execnz .LBB5_913
.LBB5_912:                              ;   in Loop: Header=BB5_866 Depth=2
	global_load_dwordx2 v[22:23], v35, s[0:1]
	s_add_i32 s25, s24, -8
	s_add_u32 s0, s0, 8
	s_addc_u32 s1, s1, 0
.LBB5_913:                              ;   in Loop: Header=BB5_866 Depth=2
	s_cmp_gt_u32 s25, 7
	s_cbranch_scc1 .LBB5_917
; %bb.914:                              ;   in Loop: Header=BB5_866 Depth=2
	s_cmp_eq_u32 s25, 0
	s_cbranch_scc1 .LBB5_918
; %bb.915:                              ;   in Loop: Header=BB5_866 Depth=2
	s_mov_b64 s[20:21], 0
	v_pk_mov_b32 v[24:25], 0, 0
	s_mov_b64 s[22:23], s[0:1]
.LBB5_916:                              ;   Parent Loop BB5_3 Depth=1
                                        ;     Parent Loop BB5_866 Depth=2
                                        ; =>    This Inner Loop Header: Depth=3
	global_load_ubyte v1, v35, s[22:23]
	s_add_i32 s25, s25, -1
	s_waitcnt vmcnt(0)
	v_and_b32_e32 v34, 0xffff, v1
	v_lshlrev_b64 v[4:5], s20, v[34:35]
	s_add_u32 s20, s20, 8
	s_addc_u32 s21, s21, 0
	s_add_u32 s22, s22, 1
	s_addc_u32 s23, s23, 0
	v_or_b32_e32 v24, v4, v24
	s_cmp_lg_u32 s25, 0
	v_or_b32_e32 v25, v5, v25
	s_cbranch_scc1 .LBB5_916
	s_branch .LBB5_919
.LBB5_917:                              ;   in Loop: Header=BB5_866 Depth=2
	s_branch .LBB5_920
.LBB5_918:                              ;   in Loop: Header=BB5_866 Depth=2
	v_pk_mov_b32 v[24:25], 0, 0
.LBB5_919:                              ;   in Loop: Header=BB5_866 Depth=2
	s_cbranch_execnz .LBB5_921
.LBB5_920:                              ;   in Loop: Header=BB5_866 Depth=2
	global_load_dwordx2 v[24:25], v35, s[0:1]
.LBB5_921:                              ;   in Loop: Header=BB5_866 Depth=2
	v_readfirstlane_b32 s0, v32
	v_cmp_eq_u32_e64 s[0:1], s0, v32
	v_pk_mov_b32 v[4:5], 0, 0
	s_and_saveexec_b64 s[20:21], s[0:1]
	s_cbranch_execz .LBB5_927
; %bb.922:                              ;   in Loop: Header=BB5_866 Depth=2
	global_load_dwordx2 v[28:29], v35, s[2:3] offset:24 glc
	s_waitcnt vmcnt(0)
	buffer_invl2
	buffer_wbinvl1_vol
	global_load_dwordx2 v[4:5], v35, s[2:3] offset:40
	global_load_dwordx2 v[26:27], v35, s[2:3]
	s_waitcnt vmcnt(1)
	v_and_b32_e32 v1, v4, v28
	v_and_b32_e32 v2, v5, v29
	v_mul_lo_u32 v2, v2, 24
	v_mul_hi_u32 v4, v1, 24
	v_mul_lo_u32 v1, v1, 24
	v_add_u32_e32 v2, v4, v2
	s_waitcnt vmcnt(0)
	v_add_co_u32_e32 v4, vcc, v26, v1
	v_addc_co_u32_e32 v5, vcc, v27, v2, vcc
	global_load_dwordx2 v[26:27], v[4:5], off glc
	s_waitcnt vmcnt(0)
	global_atomic_cmpswap_x2 v[4:5], v35, v[26:29], s[2:3] offset:24 glc
	s_waitcnt vmcnt(0)
	buffer_invl2
	buffer_wbinvl1_vol
	v_cmp_ne_u64_e32 vcc, v[4:5], v[28:29]
	s_and_saveexec_b64 s[22:23], vcc
	s_cbranch_execz .LBB5_926
; %bb.923:                              ;   in Loop: Header=BB5_866 Depth=2
	s_mov_b64 s[24:25], 0
.LBB5_924:                              ;   Parent Loop BB5_3 Depth=1
                                        ;     Parent Loop BB5_866 Depth=2
                                        ; =>    This Inner Loop Header: Depth=3
	s_sleep 1
	global_load_dwordx2 v[26:27], v35, s[2:3] offset:40
	global_load_dwordx2 v[44:45], v35, s[2:3]
	v_pk_mov_b32 v[28:29], v[4:5], v[4:5] op_sel:[0,1]
	s_waitcnt vmcnt(1)
	v_and_b32_e32 v2, v26, v28
	s_waitcnt vmcnt(0)
	v_mad_u64_u32 v[4:5], s[26:27], v2, 24, v[44:45]
	v_and_b32_e32 v1, v27, v29
	v_mov_b32_e32 v2, v5
	v_mad_u64_u32 v[26:27], s[26:27], v1, 24, v[2:3]
	v_mov_b32_e32 v5, v26
	global_load_dwordx2 v[26:27], v[4:5], off glc
	s_waitcnt vmcnt(0)
	global_atomic_cmpswap_x2 v[4:5], v35, v[26:29], s[2:3] offset:24 glc
	s_waitcnt vmcnt(0)
	buffer_invl2
	buffer_wbinvl1_vol
	v_cmp_eq_u64_e32 vcc, v[4:5], v[28:29]
	s_or_b64 s[24:25], vcc, s[24:25]
	s_andn2_b64 exec, exec, s[24:25]
	s_cbranch_execnz .LBB5_924
; %bb.925:                              ;   in Loop: Header=BB5_866 Depth=2
	s_or_b64 exec, exec, s[24:25]
.LBB5_926:                              ;   in Loop: Header=BB5_866 Depth=2
	s_or_b64 exec, exec, s[22:23]
.LBB5_927:                              ;   in Loop: Header=BB5_866 Depth=2
	s_or_b64 exec, exec, s[20:21]
	global_load_dwordx2 v[44:45], v35, s[2:3] offset:40
	global_load_dwordx4 v[26:29], v35, s[2:3]
	v_readfirstlane_b32 s20, v4
	v_readfirstlane_b32 s21, v5
	s_mov_b64 s[22:23], exec
	s_waitcnt vmcnt(1)
	v_readfirstlane_b32 s24, v44
	v_readfirstlane_b32 s25, v45
	s_and_b64 s[24:25], s[20:21], s[24:25]
	s_mul_i32 s26, s25, 24
	s_mul_hi_u32 s27, s24, 24
	s_mul_i32 s33, s24, 24
	s_add_i32 s26, s27, s26
	v_mov_b32_e32 v1, s26
	s_waitcnt vmcnt(0)
	v_add_co_u32_e32 v44, vcc, s33, v26
	v_addc_co_u32_e32 v45, vcc, v27, v1, vcc
	s_and_saveexec_b64 s[26:27], s[0:1]
	s_cbranch_execz .LBB5_929
; %bb.928:                              ;   in Loop: Header=BB5_866 Depth=2
	v_pk_mov_b32 v[4:5], s[22:23], s[22:23] op_sel:[0,1]
	global_store_dwordx4 v[44:45], v[4:7], off offset:8
.LBB5_929:                              ;   in Loop: Header=BB5_866 Depth=2
	s_or_b64 exec, exec, s[26:27]
	s_lshl_b64 s[22:23], s[24:25], 12
	v_mov_b32_e32 v1, s23
	v_add_co_u32_e32 v4, vcc, s22, v28
	v_addc_co_u32_e32 v1, vcc, v29, v1, vcc
	v_or_b32_e32 v2, 0, v9
	v_or_b32_e32 v5, v8, v42
	v_cmp_gt_u64_e64 vcc, s[16:17], 56
	s_lshl_b32 s22, s18, 2
	v_cndmask_b32_e32 v9, v2, v9, vcc
	v_cndmask_b32_e32 v2, v5, v8, vcc
	s_add_i32 s22, s22, 28
	s_and_b32 s22, s22, 0x1e0
	v_and_b32_e32 v2, 0xffffff1f, v2
	v_or_b32_e32 v8, s22, v2
	v_readfirstlane_b32 s22, v4
	v_readfirstlane_b32 s23, v1
	s_nop 4
	global_store_dwordx4 v49, v[8:11], s[22:23]
	global_store_dwordx4 v49, v[14:17], s[22:23] offset:16
	global_store_dwordx4 v49, v[18:21], s[22:23] offset:32
	;; [unrolled: 1-line block ×3, first 2 shown]
	s_and_saveexec_b64 s[22:23], s[0:1]
	s_cbranch_execz .LBB5_937
; %bb.930:                              ;   in Loop: Header=BB5_866 Depth=2
	global_load_dwordx2 v[18:19], v35, s[2:3] offset:32 glc
	global_load_dwordx2 v[8:9], v35, s[2:3] offset:40
	v_mov_b32_e32 v16, s20
	v_mov_b32_e32 v17, s21
	s_waitcnt vmcnt(0)
	v_readfirstlane_b32 s24, v8
	v_readfirstlane_b32 s25, v9
	s_and_b64 s[24:25], s[24:25], s[20:21]
	s_mul_i32 s25, s25, 24
	s_mul_hi_u32 s26, s24, 24
	s_mul_i32 s24, s24, 24
	s_add_i32 s25, s26, s25
	v_mov_b32_e32 v2, s25
	v_add_co_u32_e32 v14, vcc, s24, v26
	v_addc_co_u32_e32 v15, vcc, v27, v2, vcc
	global_store_dwordx2 v[14:15], v[18:19], off
	buffer_wbl2
	s_waitcnt vmcnt(0)
	global_atomic_cmpswap_x2 v[10:11], v35, v[16:19], s[2:3] offset:32 glc
	s_waitcnt vmcnt(0)
	v_cmp_ne_u64_e32 vcc, v[10:11], v[18:19]
	s_and_saveexec_b64 s[24:25], vcc
	s_cbranch_execz .LBB5_933
; %bb.931:                              ;   in Loop: Header=BB5_866 Depth=2
	s_mov_b64 s[26:27], 0
.LBB5_932:                              ;   Parent Loop BB5_3 Depth=1
                                        ;     Parent Loop BB5_866 Depth=2
                                        ; =>    This Inner Loop Header: Depth=3
	s_sleep 1
	global_store_dwordx2 v[14:15], v[10:11], off
	v_mov_b32_e32 v8, s20
	v_mov_b32_e32 v9, s21
	buffer_wbl2
	s_waitcnt vmcnt(0)
	global_atomic_cmpswap_x2 v[8:9], v35, v[8:11], s[2:3] offset:32 glc
	s_waitcnt vmcnt(0)
	v_cmp_eq_u64_e32 vcc, v[8:9], v[10:11]
	s_or_b64 s[26:27], vcc, s[26:27]
	v_pk_mov_b32 v[10:11], v[8:9], v[8:9] op_sel:[0,1]
	s_andn2_b64 exec, exec, s[26:27]
	s_cbranch_execnz .LBB5_932
.LBB5_933:                              ;   in Loop: Header=BB5_866 Depth=2
	s_or_b64 exec, exec, s[24:25]
	global_load_dwordx2 v[8:9], v35, s[2:3] offset:16
	s_mov_b64 s[26:27], exec
	v_mbcnt_lo_u32_b32 v2, s26, 0
	v_mbcnt_hi_u32_b32 v2, s27, v2
	v_cmp_eq_u32_e32 vcc, 0, v2
	s_and_saveexec_b64 s[24:25], vcc
	s_cbranch_execz .LBB5_935
; %bb.934:                              ;   in Loop: Header=BB5_866 Depth=2
	s_bcnt1_i32_b64 s26, s[26:27]
	v_mov_b32_e32 v2, s26
	buffer_wbl2
	s_waitcnt vmcnt(0)
	global_atomic_add_x2 v[8:9], v[2:3], off offset:8
.LBB5_935:                              ;   in Loop: Header=BB5_866 Depth=2
	s_or_b64 exec, exec, s[24:25]
	s_waitcnt vmcnt(0)
	global_load_dwordx2 v[10:11], v[8:9], off offset:16
	s_waitcnt vmcnt(0)
	v_cmp_eq_u64_e32 vcc, 0, v[10:11]
	s_cbranch_vccnz .LBB5_937
; %bb.936:                              ;   in Loop: Header=BB5_866 Depth=2
	global_load_dword v34, v[8:9], off offset:24
	s_waitcnt vmcnt(0)
	v_and_b32_e32 v2, 0xffffff, v34
	v_readfirstlane_b32 m0, v2
	buffer_wbl2
	global_store_dwordx2 v[10:11], v[34:35], off
	s_sendmsg sendmsg(MSG_INTERRUPT)
.LBB5_937:                              ;   in Loop: Header=BB5_866 Depth=2
	s_or_b64 exec, exec, s[22:23]
	v_add_co_u32_e32 v4, vcc, v4, v49
	v_addc_co_u32_e32 v5, vcc, 0, v1, vcc
	s_branch .LBB5_941
.LBB5_938:                              ;   in Loop: Header=BB5_941 Depth=3
	s_or_b64 exec, exec, s[22:23]
	v_readfirstlane_b32 s22, v1
	s_cmp_eq_u32 s22, 0
	s_cbranch_scc1 .LBB5_940
; %bb.939:                              ;   in Loop: Header=BB5_941 Depth=3
	s_sleep 1
	s_cbranch_execnz .LBB5_941
	s_branch .LBB5_943
.LBB5_940:                              ;   in Loop: Header=BB5_866 Depth=2
	s_branch .LBB5_943
.LBB5_941:                              ;   Parent Loop BB5_3 Depth=1
                                        ;     Parent Loop BB5_866 Depth=2
                                        ; =>    This Inner Loop Header: Depth=3
	v_mov_b32_e32 v1, 1
	s_and_saveexec_b64 s[22:23], s[0:1]
	s_cbranch_execz .LBB5_938
; %bb.942:                              ;   in Loop: Header=BB5_941 Depth=3
	global_load_dword v1, v[44:45], off offset:20 glc
	s_waitcnt vmcnt(0)
	buffer_invl2
	buffer_wbinvl1_vol
	v_and_b32_e32 v1, 1, v1
	s_branch .LBB5_938
.LBB5_943:                              ;   in Loop: Header=BB5_866 Depth=2
	global_load_dwordx4 v[8:11], v[4:5], off
	s_and_saveexec_b64 s[22:23], s[0:1]
	s_cbranch_execz .LBB5_865
; %bb.944:                              ;   in Loop: Header=BB5_866 Depth=2
	global_load_dwordx2 v[4:5], v35, s[2:3] offset:40
	global_load_dwordx2 v[10:11], v35, s[2:3] offset:24 glc
	global_load_dwordx2 v[18:19], v35, s[2:3]
	v_mov_b32_e32 v1, s21
	s_waitcnt vmcnt(2)
	v_add_co_u32_e32 v2, vcc, 1, v4
	v_addc_co_u32_e32 v17, vcc, 0, v5, vcc
	v_add_co_u32_e32 v14, vcc, s20, v2
	v_addc_co_u32_e32 v15, vcc, v17, v1, vcc
	v_cmp_eq_u64_e32 vcc, 0, v[14:15]
	v_cndmask_b32_e32 v15, v15, v17, vcc
	v_cndmask_b32_e32 v14, v14, v2, vcc
	v_and_b32_e32 v1, v15, v5
	v_and_b32_e32 v2, v14, v4
	v_mul_lo_u32 v1, v1, 24
	v_mul_hi_u32 v4, v2, 24
	v_mul_lo_u32 v2, v2, 24
	v_add_u32_e32 v1, v4, v1
	s_waitcnt vmcnt(0)
	v_add_co_u32_e32 v4, vcc, v18, v2
	v_addc_co_u32_e32 v5, vcc, v19, v1, vcc
	v_mov_b32_e32 v16, v10
	global_store_dwordx2 v[4:5], v[10:11], off
	v_mov_b32_e32 v17, v11
	buffer_wbl2
	s_waitcnt vmcnt(0)
	global_atomic_cmpswap_x2 v[16:17], v35, v[14:17], s[2:3] offset:24 glc
	s_waitcnt vmcnt(0)
	v_cmp_ne_u64_e32 vcc, v[16:17], v[10:11]
	s_and_b64 exec, exec, vcc
	s_cbranch_execz .LBB5_865
; %bb.945:                              ;   in Loop: Header=BB5_866 Depth=2
	s_mov_b64 s[0:1], 0
.LBB5_946:                              ;   Parent Loop BB5_3 Depth=1
                                        ;     Parent Loop BB5_866 Depth=2
                                        ; =>    This Inner Loop Header: Depth=3
	s_sleep 1
	global_store_dwordx2 v[4:5], v[16:17], off
	buffer_wbl2
	s_waitcnt vmcnt(0)
	global_atomic_cmpswap_x2 v[10:11], v35, v[14:17], s[2:3] offset:24 glc
	s_waitcnt vmcnt(0)
	v_cmp_eq_u64_e32 vcc, v[10:11], v[16:17]
	s_or_b64 s[0:1], vcc, s[0:1]
	v_pk_mov_b32 v[16:17], v[10:11], v[10:11] op_sel:[0,1]
	s_andn2_b64 exec, exec, s[0:1]
	s_cbranch_execnz .LBB5_946
	s_branch .LBB5_865
.LBB5_947:                              ;   in Loop: Header=BB5_3 Depth=1
.LBB5_948:                              ;   in Loop: Header=BB5_3 Depth=1
	s_and_b64 vcc, exec, s[12:13]
	s_cbranch_vccz .LBB5_1061
.LBB5_949:                              ;   in Loop: Header=BB5_3 Depth=1
	s_waitcnt vmcnt(0)
	v_and_b32_e32 v42, 2, v8
	v_and_b32_e32 v10, -3, v8
	v_mov_b32_e32 v11, v9
	s_mov_b64 s[16:17], 45
	s_getpc_b64 s[14:15]
	s_add_u32 s14, s14, .str.6@rel32@lo+4
	s_addc_u32 s15, s15, .str.6@rel32@hi+12
	s_branch .LBB5_951
.LBB5_950:                              ;   in Loop: Header=BB5_951 Depth=2
	s_or_b64 exec, exec, s[22:23]
	s_sub_u32 s16, s16, s18
	s_subb_u32 s17, s17, s19
	s_add_u32 s14, s14, s18
	s_addc_u32 s15, s15, s19
	s_cmp_lg_u64 s[16:17], 0
	s_cbranch_scc0 .LBB5_1032
.LBB5_951:                              ;   Parent Loop BB5_3 Depth=1
                                        ; =>  This Loop Header: Depth=2
                                        ;       Child Loop BB5_954 Depth 3
                                        ;       Child Loop BB5_961 Depth 3
	;; [unrolled: 1-line block ×11, first 2 shown]
	v_cmp_lt_u64_e64 s[0:1], s[16:17], 56
	s_and_b64 s[0:1], s[0:1], exec
	v_cmp_gt_u64_e64 s[0:1], s[16:17], 7
	s_cselect_b32 s19, s17, 0
	s_cselect_b32 s18, s16, 56
	s_and_b64 vcc, exec, s[0:1]
	s_cbranch_vccnz .LBB5_956
; %bb.952:                              ;   in Loop: Header=BB5_951 Depth=2
	s_mov_b64 s[0:1], 0
	s_cmp_eq_u64 s[16:17], 0
	s_waitcnt vmcnt(0)
	v_pk_mov_b32 v[12:13], 0, 0
	s_cbranch_scc1 .LBB5_955
; %bb.953:                              ;   in Loop: Header=BB5_951 Depth=2
	s_lshl_b64 s[20:21], s[18:19], 3
	s_mov_b64 s[22:23], 0
	v_pk_mov_b32 v[12:13], 0, 0
	s_mov_b64 s[24:25], s[14:15]
.LBB5_954:                              ;   Parent Loop BB5_3 Depth=1
                                        ;     Parent Loop BB5_951 Depth=2
                                        ; =>    This Inner Loop Header: Depth=3
	global_load_ubyte v1, v35, s[24:25]
	s_waitcnt vmcnt(0)
	v_and_b32_e32 v34, 0xffff, v1
	v_lshlrev_b64 v[4:5], s22, v[34:35]
	s_add_u32 s22, s22, 8
	s_addc_u32 s23, s23, 0
	s_add_u32 s24, s24, 1
	s_addc_u32 s25, s25, 0
	v_or_b32_e32 v12, v4, v12
	s_cmp_lg_u32 s20, s22
	v_or_b32_e32 v13, v5, v13
	s_cbranch_scc1 .LBB5_954
.LBB5_955:                              ;   in Loop: Header=BB5_951 Depth=2
	s_mov_b32 s24, 0
	s_andn2_b64 vcc, exec, s[0:1]
	s_mov_b64 s[0:1], s[14:15]
	s_cbranch_vccz .LBB5_957
	s_branch .LBB5_958
.LBB5_956:                              ;   in Loop: Header=BB5_951 Depth=2
                                        ; implicit-def: $vgpr12_vgpr13
                                        ; implicit-def: $sgpr24
	s_mov_b64 s[0:1], s[14:15]
.LBB5_957:                              ;   in Loop: Header=BB5_951 Depth=2
	global_load_dwordx2 v[12:13], v35, s[14:15]
	s_add_i32 s24, s18, -8
	s_add_u32 s0, s14, 8
	s_addc_u32 s1, s15, 0
.LBB5_958:                              ;   in Loop: Header=BB5_951 Depth=2
	s_cmp_gt_u32 s24, 7
	s_cbranch_scc1 .LBB5_962
; %bb.959:                              ;   in Loop: Header=BB5_951 Depth=2
	s_cmp_eq_u32 s24, 0
	s_cbranch_scc1 .LBB5_963
; %bb.960:                              ;   in Loop: Header=BB5_951 Depth=2
	s_mov_b64 s[20:21], 0
	v_pk_mov_b32 v[14:15], 0, 0
	s_mov_b64 s[22:23], 0
.LBB5_961:                              ;   Parent Loop BB5_3 Depth=1
                                        ;     Parent Loop BB5_951 Depth=2
                                        ; =>    This Inner Loop Header: Depth=3
	s_add_u32 s26, s0, s22
	s_addc_u32 s27, s1, s23
	global_load_ubyte v1, v35, s[26:27]
	s_add_u32 s22, s22, 1
	s_addc_u32 s23, s23, 0
	s_waitcnt vmcnt(0)
	v_and_b32_e32 v34, 0xffff, v1
	v_lshlrev_b64 v[4:5], s20, v[34:35]
	s_add_u32 s20, s20, 8
	s_addc_u32 s21, s21, 0
	v_or_b32_e32 v14, v4, v14
	s_cmp_lg_u32 s24, s22
	v_or_b32_e32 v15, v5, v15
	s_cbranch_scc1 .LBB5_961
	s_branch .LBB5_964
.LBB5_962:                              ;   in Loop: Header=BB5_951 Depth=2
                                        ; implicit-def: $vgpr14_vgpr15
                                        ; implicit-def: $sgpr25
	s_branch .LBB5_965
.LBB5_963:                              ;   in Loop: Header=BB5_951 Depth=2
	v_pk_mov_b32 v[14:15], 0, 0
.LBB5_964:                              ;   in Loop: Header=BB5_951 Depth=2
	s_mov_b32 s25, 0
	s_cbranch_execnz .LBB5_966
.LBB5_965:                              ;   in Loop: Header=BB5_951 Depth=2
	global_load_dwordx2 v[14:15], v35, s[0:1]
	s_add_i32 s25, s24, -8
	s_add_u32 s0, s0, 8
	s_addc_u32 s1, s1, 0
.LBB5_966:                              ;   in Loop: Header=BB5_951 Depth=2
	s_cmp_gt_u32 s25, 7
	s_cbranch_scc1 .LBB5_970
; %bb.967:                              ;   in Loop: Header=BB5_951 Depth=2
	s_cmp_eq_u32 s25, 0
	s_cbranch_scc1 .LBB5_971
; %bb.968:                              ;   in Loop: Header=BB5_951 Depth=2
	s_mov_b64 s[20:21], 0
	v_pk_mov_b32 v[16:17], 0, 0
	s_mov_b64 s[22:23], 0
.LBB5_969:                              ;   Parent Loop BB5_3 Depth=1
                                        ;     Parent Loop BB5_951 Depth=2
                                        ; =>    This Inner Loop Header: Depth=3
	s_add_u32 s26, s0, s22
	s_addc_u32 s27, s1, s23
	global_load_ubyte v1, v35, s[26:27]
	s_add_u32 s22, s22, 1
	s_addc_u32 s23, s23, 0
	s_waitcnt vmcnt(0)
	v_and_b32_e32 v34, 0xffff, v1
	v_lshlrev_b64 v[4:5], s20, v[34:35]
	s_add_u32 s20, s20, 8
	s_addc_u32 s21, s21, 0
	v_or_b32_e32 v16, v4, v16
	s_cmp_lg_u32 s25, s22
	v_or_b32_e32 v17, v5, v17
	s_cbranch_scc1 .LBB5_969
	s_branch .LBB5_972
.LBB5_970:                              ;   in Loop: Header=BB5_951 Depth=2
                                        ; implicit-def: $sgpr24
	s_branch .LBB5_973
.LBB5_971:                              ;   in Loop: Header=BB5_951 Depth=2
	v_pk_mov_b32 v[16:17], 0, 0
.LBB5_972:                              ;   in Loop: Header=BB5_951 Depth=2
	s_mov_b32 s24, 0
	s_cbranch_execnz .LBB5_974
.LBB5_973:                              ;   in Loop: Header=BB5_951 Depth=2
	global_load_dwordx2 v[16:17], v35, s[0:1]
	s_add_i32 s24, s25, -8
	s_add_u32 s0, s0, 8
	s_addc_u32 s1, s1, 0
.LBB5_974:                              ;   in Loop: Header=BB5_951 Depth=2
	s_cmp_gt_u32 s24, 7
	s_cbranch_scc1 .LBB5_978
; %bb.975:                              ;   in Loop: Header=BB5_951 Depth=2
	s_cmp_eq_u32 s24, 0
	s_cbranch_scc1 .LBB5_979
; %bb.976:                              ;   in Loop: Header=BB5_951 Depth=2
	s_mov_b64 s[20:21], 0
	v_pk_mov_b32 v[18:19], 0, 0
	s_mov_b64 s[22:23], 0
.LBB5_977:                              ;   Parent Loop BB5_3 Depth=1
                                        ;     Parent Loop BB5_951 Depth=2
                                        ; =>    This Inner Loop Header: Depth=3
	s_add_u32 s26, s0, s22
	s_addc_u32 s27, s1, s23
	global_load_ubyte v1, v35, s[26:27]
	s_add_u32 s22, s22, 1
	s_addc_u32 s23, s23, 0
	s_waitcnt vmcnt(0)
	v_and_b32_e32 v34, 0xffff, v1
	v_lshlrev_b64 v[4:5], s20, v[34:35]
	s_add_u32 s20, s20, 8
	s_addc_u32 s21, s21, 0
	v_or_b32_e32 v18, v4, v18
	s_cmp_lg_u32 s24, s22
	v_or_b32_e32 v19, v5, v19
	s_cbranch_scc1 .LBB5_977
	s_branch .LBB5_980
.LBB5_978:                              ;   in Loop: Header=BB5_951 Depth=2
                                        ; implicit-def: $vgpr18_vgpr19
                                        ; implicit-def: $sgpr25
	s_branch .LBB5_981
.LBB5_979:                              ;   in Loop: Header=BB5_951 Depth=2
	v_pk_mov_b32 v[18:19], 0, 0
.LBB5_980:                              ;   in Loop: Header=BB5_951 Depth=2
	s_mov_b32 s25, 0
	s_cbranch_execnz .LBB5_982
.LBB5_981:                              ;   in Loop: Header=BB5_951 Depth=2
	global_load_dwordx2 v[18:19], v35, s[0:1]
	s_add_i32 s25, s24, -8
	s_add_u32 s0, s0, 8
	s_addc_u32 s1, s1, 0
.LBB5_982:                              ;   in Loop: Header=BB5_951 Depth=2
	s_cmp_gt_u32 s25, 7
	s_cbranch_scc1 .LBB5_986
; %bb.983:                              ;   in Loop: Header=BB5_951 Depth=2
	s_cmp_eq_u32 s25, 0
	s_cbranch_scc1 .LBB5_987
; %bb.984:                              ;   in Loop: Header=BB5_951 Depth=2
	s_mov_b64 s[20:21], 0
	v_pk_mov_b32 v[20:21], 0, 0
	s_mov_b64 s[22:23], 0
.LBB5_985:                              ;   Parent Loop BB5_3 Depth=1
                                        ;     Parent Loop BB5_951 Depth=2
                                        ; =>    This Inner Loop Header: Depth=3
	s_add_u32 s26, s0, s22
	s_addc_u32 s27, s1, s23
	global_load_ubyte v1, v35, s[26:27]
	s_add_u32 s22, s22, 1
	s_addc_u32 s23, s23, 0
	s_waitcnt vmcnt(0)
	v_and_b32_e32 v34, 0xffff, v1
	v_lshlrev_b64 v[4:5], s20, v[34:35]
	s_add_u32 s20, s20, 8
	s_addc_u32 s21, s21, 0
	v_or_b32_e32 v20, v4, v20
	s_cmp_lg_u32 s25, s22
	v_or_b32_e32 v21, v5, v21
	s_cbranch_scc1 .LBB5_985
	s_branch .LBB5_988
.LBB5_986:                              ;   in Loop: Header=BB5_951 Depth=2
                                        ; implicit-def: $sgpr24
	s_branch .LBB5_989
.LBB5_987:                              ;   in Loop: Header=BB5_951 Depth=2
	v_pk_mov_b32 v[20:21], 0, 0
.LBB5_988:                              ;   in Loop: Header=BB5_951 Depth=2
	s_mov_b32 s24, 0
	s_cbranch_execnz .LBB5_990
.LBB5_989:                              ;   in Loop: Header=BB5_951 Depth=2
	global_load_dwordx2 v[20:21], v35, s[0:1]
	s_add_i32 s24, s25, -8
	s_add_u32 s0, s0, 8
	s_addc_u32 s1, s1, 0
.LBB5_990:                              ;   in Loop: Header=BB5_951 Depth=2
	s_cmp_gt_u32 s24, 7
	s_cbranch_scc1 .LBB5_994
; %bb.991:                              ;   in Loop: Header=BB5_951 Depth=2
	s_cmp_eq_u32 s24, 0
	s_cbranch_scc1 .LBB5_995
; %bb.992:                              ;   in Loop: Header=BB5_951 Depth=2
	s_mov_b64 s[20:21], 0
	v_pk_mov_b32 v[22:23], 0, 0
	s_mov_b64 s[22:23], 0
.LBB5_993:                              ;   Parent Loop BB5_3 Depth=1
                                        ;     Parent Loop BB5_951 Depth=2
                                        ; =>    This Inner Loop Header: Depth=3
	s_add_u32 s26, s0, s22
	s_addc_u32 s27, s1, s23
	global_load_ubyte v1, v35, s[26:27]
	s_add_u32 s22, s22, 1
	s_addc_u32 s23, s23, 0
	s_waitcnt vmcnt(0)
	v_and_b32_e32 v34, 0xffff, v1
	v_lshlrev_b64 v[4:5], s20, v[34:35]
	s_add_u32 s20, s20, 8
	s_addc_u32 s21, s21, 0
	v_or_b32_e32 v22, v4, v22
	s_cmp_lg_u32 s24, s22
	v_or_b32_e32 v23, v5, v23
	s_cbranch_scc1 .LBB5_993
	s_branch .LBB5_996
.LBB5_994:                              ;   in Loop: Header=BB5_951 Depth=2
                                        ; implicit-def: $vgpr22_vgpr23
                                        ; implicit-def: $sgpr25
	s_branch .LBB5_997
.LBB5_995:                              ;   in Loop: Header=BB5_951 Depth=2
	v_pk_mov_b32 v[22:23], 0, 0
.LBB5_996:                              ;   in Loop: Header=BB5_951 Depth=2
	s_mov_b32 s25, 0
	s_cbranch_execnz .LBB5_998
.LBB5_997:                              ;   in Loop: Header=BB5_951 Depth=2
	global_load_dwordx2 v[22:23], v35, s[0:1]
	s_add_i32 s25, s24, -8
	s_add_u32 s0, s0, 8
	s_addc_u32 s1, s1, 0
.LBB5_998:                              ;   in Loop: Header=BB5_951 Depth=2
	s_cmp_gt_u32 s25, 7
	s_cbranch_scc1 .LBB5_1002
; %bb.999:                              ;   in Loop: Header=BB5_951 Depth=2
	s_cmp_eq_u32 s25, 0
	s_cbranch_scc1 .LBB5_1003
; %bb.1000:                             ;   in Loop: Header=BB5_951 Depth=2
	s_mov_b64 s[20:21], 0
	v_pk_mov_b32 v[24:25], 0, 0
	s_mov_b64 s[22:23], s[0:1]
.LBB5_1001:                             ;   Parent Loop BB5_3 Depth=1
                                        ;     Parent Loop BB5_951 Depth=2
                                        ; =>    This Inner Loop Header: Depth=3
	global_load_ubyte v1, v35, s[22:23]
	s_add_i32 s25, s25, -1
	s_waitcnt vmcnt(0)
	v_and_b32_e32 v34, 0xffff, v1
	v_lshlrev_b64 v[4:5], s20, v[34:35]
	s_add_u32 s20, s20, 8
	s_addc_u32 s21, s21, 0
	s_add_u32 s22, s22, 1
	s_addc_u32 s23, s23, 0
	v_or_b32_e32 v24, v4, v24
	s_cmp_lg_u32 s25, 0
	v_or_b32_e32 v25, v5, v25
	s_cbranch_scc1 .LBB5_1001
	s_branch .LBB5_1004
.LBB5_1002:                             ;   in Loop: Header=BB5_951 Depth=2
	s_branch .LBB5_1005
.LBB5_1003:                             ;   in Loop: Header=BB5_951 Depth=2
	v_pk_mov_b32 v[24:25], 0, 0
.LBB5_1004:                             ;   in Loop: Header=BB5_951 Depth=2
	s_cbranch_execnz .LBB5_1006
.LBB5_1005:                             ;   in Loop: Header=BB5_951 Depth=2
	global_load_dwordx2 v[24:25], v35, s[0:1]
.LBB5_1006:                             ;   in Loop: Header=BB5_951 Depth=2
	v_readfirstlane_b32 s0, v32
	v_cmp_eq_u32_e64 s[0:1], s0, v32
	v_pk_mov_b32 v[4:5], 0, 0
	s_and_saveexec_b64 s[20:21], s[0:1]
	s_cbranch_execz .LBB5_1012
; %bb.1007:                             ;   in Loop: Header=BB5_951 Depth=2
	global_load_dwordx2 v[28:29], v35, s[2:3] offset:24 glc
	s_waitcnt vmcnt(0)
	buffer_invl2
	buffer_wbinvl1_vol
	global_load_dwordx2 v[4:5], v35, s[2:3] offset:40
	global_load_dwordx2 v[26:27], v35, s[2:3]
	s_waitcnt vmcnt(1)
	v_and_b32_e32 v1, v4, v28
	v_and_b32_e32 v2, v5, v29
	v_mul_lo_u32 v2, v2, 24
	v_mul_hi_u32 v4, v1, 24
	v_mul_lo_u32 v1, v1, 24
	v_add_u32_e32 v2, v4, v2
	s_waitcnt vmcnt(0)
	v_add_co_u32_e32 v4, vcc, v26, v1
	v_addc_co_u32_e32 v5, vcc, v27, v2, vcc
	global_load_dwordx2 v[26:27], v[4:5], off glc
	s_waitcnt vmcnt(0)
	global_atomic_cmpswap_x2 v[4:5], v35, v[26:29], s[2:3] offset:24 glc
	s_waitcnt vmcnt(0)
	buffer_invl2
	buffer_wbinvl1_vol
	v_cmp_ne_u64_e32 vcc, v[4:5], v[28:29]
	s_and_saveexec_b64 s[22:23], vcc
	s_cbranch_execz .LBB5_1011
; %bb.1008:                             ;   in Loop: Header=BB5_951 Depth=2
	s_mov_b64 s[24:25], 0
.LBB5_1009:                             ;   Parent Loop BB5_3 Depth=1
                                        ;     Parent Loop BB5_951 Depth=2
                                        ; =>    This Inner Loop Header: Depth=3
	s_sleep 1
	global_load_dwordx2 v[26:27], v35, s[2:3] offset:40
	global_load_dwordx2 v[44:45], v35, s[2:3]
	v_pk_mov_b32 v[28:29], v[4:5], v[4:5] op_sel:[0,1]
	s_waitcnt vmcnt(1)
	v_and_b32_e32 v2, v26, v28
	s_waitcnt vmcnt(0)
	v_mad_u64_u32 v[4:5], s[26:27], v2, 24, v[44:45]
	v_and_b32_e32 v1, v27, v29
	v_mov_b32_e32 v2, v5
	v_mad_u64_u32 v[26:27], s[26:27], v1, 24, v[2:3]
	v_mov_b32_e32 v5, v26
	global_load_dwordx2 v[26:27], v[4:5], off glc
	s_waitcnt vmcnt(0)
	global_atomic_cmpswap_x2 v[4:5], v35, v[26:29], s[2:3] offset:24 glc
	s_waitcnt vmcnt(0)
	buffer_invl2
	buffer_wbinvl1_vol
	v_cmp_eq_u64_e32 vcc, v[4:5], v[28:29]
	s_or_b64 s[24:25], vcc, s[24:25]
	s_andn2_b64 exec, exec, s[24:25]
	s_cbranch_execnz .LBB5_1009
; %bb.1010:                             ;   in Loop: Header=BB5_951 Depth=2
	s_or_b64 exec, exec, s[24:25]
.LBB5_1011:                             ;   in Loop: Header=BB5_951 Depth=2
	s_or_b64 exec, exec, s[22:23]
.LBB5_1012:                             ;   in Loop: Header=BB5_951 Depth=2
	s_or_b64 exec, exec, s[20:21]
	global_load_dwordx2 v[44:45], v35, s[2:3] offset:40
	global_load_dwordx4 v[26:29], v35, s[2:3]
	v_readfirstlane_b32 s20, v4
	v_readfirstlane_b32 s21, v5
	s_mov_b64 s[22:23], exec
	s_waitcnt vmcnt(1)
	v_readfirstlane_b32 s24, v44
	v_readfirstlane_b32 s25, v45
	s_and_b64 s[24:25], s[20:21], s[24:25]
	s_mul_i32 s26, s25, 24
	s_mul_hi_u32 s27, s24, 24
	s_mul_i32 s33, s24, 24
	s_add_i32 s26, s27, s26
	v_mov_b32_e32 v1, s26
	s_waitcnt vmcnt(0)
	v_add_co_u32_e32 v44, vcc, s33, v26
	v_addc_co_u32_e32 v45, vcc, v27, v1, vcc
	s_and_saveexec_b64 s[26:27], s[0:1]
	s_cbranch_execz .LBB5_1014
; %bb.1013:                             ;   in Loop: Header=BB5_951 Depth=2
	v_pk_mov_b32 v[4:5], s[22:23], s[22:23] op_sel:[0,1]
	global_store_dwordx4 v[44:45], v[4:7], off offset:8
.LBB5_1014:                             ;   in Loop: Header=BB5_951 Depth=2
	s_or_b64 exec, exec, s[26:27]
	s_lshl_b64 s[22:23], s[24:25], 12
	v_mov_b32_e32 v1, s23
	v_add_co_u32_e32 v4, vcc, s22, v28
	v_addc_co_u32_e32 v1, vcc, v29, v1, vcc
	v_or_b32_e32 v2, 0, v11
	v_or_b32_e32 v5, v10, v42
	v_cmp_gt_u64_e64 vcc, s[16:17], 56
	s_lshl_b32 s22, s18, 2
	v_cndmask_b32_e32 v11, v2, v11, vcc
	v_cndmask_b32_e32 v2, v5, v10, vcc
	s_add_i32 s22, s22, 28
	s_and_b32 s22, s22, 0x1e0
	v_and_b32_e32 v2, 0xffffff1f, v2
	v_or_b32_e32 v10, s22, v2
	v_readfirstlane_b32 s22, v4
	v_readfirstlane_b32 s23, v1
	s_nop 4
	global_store_dwordx4 v49, v[10:13], s[22:23]
	global_store_dwordx4 v49, v[14:17], s[22:23] offset:16
	global_store_dwordx4 v49, v[18:21], s[22:23] offset:32
	;; [unrolled: 1-line block ×3, first 2 shown]
	s_and_saveexec_b64 s[22:23], s[0:1]
	s_cbranch_execz .LBB5_1022
; %bb.1015:                             ;   in Loop: Header=BB5_951 Depth=2
	global_load_dwordx2 v[18:19], v35, s[2:3] offset:32 glc
	global_load_dwordx2 v[10:11], v35, s[2:3] offset:40
	v_mov_b32_e32 v16, s20
	v_mov_b32_e32 v17, s21
	s_waitcnt vmcnt(0)
	v_readfirstlane_b32 s24, v10
	v_readfirstlane_b32 s25, v11
	s_and_b64 s[24:25], s[24:25], s[20:21]
	s_mul_i32 s25, s25, 24
	s_mul_hi_u32 s26, s24, 24
	s_mul_i32 s24, s24, 24
	s_add_i32 s25, s26, s25
	v_mov_b32_e32 v2, s25
	v_add_co_u32_e32 v14, vcc, s24, v26
	v_addc_co_u32_e32 v15, vcc, v27, v2, vcc
	global_store_dwordx2 v[14:15], v[18:19], off
	buffer_wbl2
	s_waitcnt vmcnt(0)
	global_atomic_cmpswap_x2 v[12:13], v35, v[16:19], s[2:3] offset:32 glc
	s_waitcnt vmcnt(0)
	v_cmp_ne_u64_e32 vcc, v[12:13], v[18:19]
	s_and_saveexec_b64 s[24:25], vcc
	s_cbranch_execz .LBB5_1018
; %bb.1016:                             ;   in Loop: Header=BB5_951 Depth=2
	s_mov_b64 s[26:27], 0
.LBB5_1017:                             ;   Parent Loop BB5_3 Depth=1
                                        ;     Parent Loop BB5_951 Depth=2
                                        ; =>    This Inner Loop Header: Depth=3
	s_sleep 1
	global_store_dwordx2 v[14:15], v[12:13], off
	v_mov_b32_e32 v10, s20
	v_mov_b32_e32 v11, s21
	buffer_wbl2
	s_waitcnt vmcnt(0)
	global_atomic_cmpswap_x2 v[10:11], v35, v[10:13], s[2:3] offset:32 glc
	s_waitcnt vmcnt(0)
	v_cmp_eq_u64_e32 vcc, v[10:11], v[12:13]
	s_or_b64 s[26:27], vcc, s[26:27]
	v_pk_mov_b32 v[12:13], v[10:11], v[10:11] op_sel:[0,1]
	s_andn2_b64 exec, exec, s[26:27]
	s_cbranch_execnz .LBB5_1017
.LBB5_1018:                             ;   in Loop: Header=BB5_951 Depth=2
	s_or_b64 exec, exec, s[24:25]
	global_load_dwordx2 v[10:11], v35, s[2:3] offset:16
	s_mov_b64 s[26:27], exec
	v_mbcnt_lo_u32_b32 v2, s26, 0
	v_mbcnt_hi_u32_b32 v2, s27, v2
	v_cmp_eq_u32_e32 vcc, 0, v2
	s_and_saveexec_b64 s[24:25], vcc
	s_cbranch_execz .LBB5_1020
; %bb.1019:                             ;   in Loop: Header=BB5_951 Depth=2
	s_bcnt1_i32_b64 s26, s[26:27]
	v_mov_b32_e32 v2, s26
	buffer_wbl2
	s_waitcnt vmcnt(0)
	global_atomic_add_x2 v[10:11], v[2:3], off offset:8
.LBB5_1020:                             ;   in Loop: Header=BB5_951 Depth=2
	s_or_b64 exec, exec, s[24:25]
	s_waitcnt vmcnt(0)
	global_load_dwordx2 v[12:13], v[10:11], off offset:16
	s_waitcnt vmcnt(0)
	v_cmp_eq_u64_e32 vcc, 0, v[12:13]
	s_cbranch_vccnz .LBB5_1022
; %bb.1021:                             ;   in Loop: Header=BB5_951 Depth=2
	global_load_dword v34, v[10:11], off offset:24
	s_waitcnt vmcnt(0)
	v_and_b32_e32 v2, 0xffffff, v34
	v_readfirstlane_b32 m0, v2
	buffer_wbl2
	global_store_dwordx2 v[12:13], v[34:35], off
	s_sendmsg sendmsg(MSG_INTERRUPT)
.LBB5_1022:                             ;   in Loop: Header=BB5_951 Depth=2
	s_or_b64 exec, exec, s[22:23]
	v_add_co_u32_e32 v4, vcc, v4, v49
	v_addc_co_u32_e32 v5, vcc, 0, v1, vcc
	s_branch .LBB5_1026
.LBB5_1023:                             ;   in Loop: Header=BB5_1026 Depth=3
	s_or_b64 exec, exec, s[22:23]
	v_readfirstlane_b32 s22, v1
	s_cmp_eq_u32 s22, 0
	s_cbranch_scc1 .LBB5_1025
; %bb.1024:                             ;   in Loop: Header=BB5_1026 Depth=3
	s_sleep 1
	s_cbranch_execnz .LBB5_1026
	s_branch .LBB5_1028
.LBB5_1025:                             ;   in Loop: Header=BB5_951 Depth=2
	s_branch .LBB5_1028
.LBB5_1026:                             ;   Parent Loop BB5_3 Depth=1
                                        ;     Parent Loop BB5_951 Depth=2
                                        ; =>    This Inner Loop Header: Depth=3
	v_mov_b32_e32 v1, 1
	s_and_saveexec_b64 s[22:23], s[0:1]
	s_cbranch_execz .LBB5_1023
; %bb.1027:                             ;   in Loop: Header=BB5_1026 Depth=3
	global_load_dword v1, v[44:45], off offset:20 glc
	s_waitcnt vmcnt(0)
	buffer_invl2
	buffer_wbinvl1_vol
	v_and_b32_e32 v1, 1, v1
	s_branch .LBB5_1023
.LBB5_1028:                             ;   in Loop: Header=BB5_951 Depth=2
	global_load_dwordx4 v[10:13], v[4:5], off
	s_and_saveexec_b64 s[22:23], s[0:1]
	s_cbranch_execz .LBB5_950
; %bb.1029:                             ;   in Loop: Header=BB5_951 Depth=2
	global_load_dwordx2 v[4:5], v35, s[2:3] offset:40
	global_load_dwordx2 v[16:17], v35, s[2:3] offset:24 glc
	global_load_dwordx2 v[18:19], v35, s[2:3]
	v_mov_b32_e32 v1, s21
	s_waitcnt vmcnt(2)
	v_add_co_u32_e32 v2, vcc, 1, v4
	v_addc_co_u32_e32 v15, vcc, 0, v5, vcc
	v_add_co_u32_e32 v12, vcc, s20, v2
	v_addc_co_u32_e32 v13, vcc, v15, v1, vcc
	v_cmp_eq_u64_e32 vcc, 0, v[12:13]
	v_cndmask_b32_e32 v13, v13, v15, vcc
	v_cndmask_b32_e32 v12, v12, v2, vcc
	v_and_b32_e32 v1, v13, v5
	v_and_b32_e32 v2, v12, v4
	v_mul_lo_u32 v1, v1, 24
	v_mul_hi_u32 v4, v2, 24
	v_mul_lo_u32 v2, v2, 24
	v_add_u32_e32 v1, v4, v1
	s_waitcnt vmcnt(0)
	v_add_co_u32_e32 v4, vcc, v18, v2
	v_addc_co_u32_e32 v5, vcc, v19, v1, vcc
	v_mov_b32_e32 v14, v16
	global_store_dwordx2 v[4:5], v[16:17], off
	v_mov_b32_e32 v15, v17
	buffer_wbl2
	s_waitcnt vmcnt(0)
	global_atomic_cmpswap_x2 v[14:15], v35, v[12:15], s[2:3] offset:24 glc
	s_waitcnt vmcnt(0)
	v_cmp_ne_u64_e32 vcc, v[14:15], v[16:17]
	s_and_b64 exec, exec, vcc
	s_cbranch_execz .LBB5_950
; %bb.1030:                             ;   in Loop: Header=BB5_951 Depth=2
	s_mov_b64 s[0:1], 0
.LBB5_1031:                             ;   Parent Loop BB5_3 Depth=1
                                        ;     Parent Loop BB5_951 Depth=2
                                        ; =>    This Inner Loop Header: Depth=3
	s_sleep 1
	global_store_dwordx2 v[4:5], v[14:15], off
	buffer_wbl2
	s_waitcnt vmcnt(0)
	global_atomic_cmpswap_x2 v[16:17], v35, v[12:15], s[2:3] offset:24 glc
	s_waitcnt vmcnt(0)
	v_cmp_eq_u64_e32 vcc, v[16:17], v[14:15]
	s_or_b64 s[0:1], vcc, s[0:1]
	v_pk_mov_b32 v[14:15], v[16:17], v[16:17] op_sel:[0,1]
	s_andn2_b64 exec, exec, s[0:1]
	s_cbranch_execnz .LBB5_1031
	s_branch .LBB5_950
.LBB5_1032:                             ;   in Loop: Header=BB5_3 Depth=1
	s_branch .LBB5_1089
.LBB5_1033:                             ;   in Loop: Header=BB5_3 Depth=1
                                        ; implicit-def: $vgpr8_vgpr9
	s_cbranch_execz .LBB5_948
; %bb.1034:                             ;   in Loop: Header=BB5_3 Depth=1
	v_readfirstlane_b32 s0, v32
	v_cmp_eq_u32_e64 s[0:1], s0, v32
	v_pk_mov_b32 v[4:5], 0, 0
	s_and_saveexec_b64 s[14:15], s[0:1]
	s_cbranch_execz .LBB5_1040
; %bb.1035:                             ;   in Loop: Header=BB5_3 Depth=1
	global_load_dwordx2 v[10:11], v35, s[2:3] offset:24 glc
	s_waitcnt vmcnt(0)
	buffer_invl2
	buffer_wbinvl1_vol
	global_load_dwordx2 v[4:5], v35, s[2:3] offset:40
	global_load_dwordx2 v[8:9], v35, s[2:3]
	s_waitcnt vmcnt(1)
	v_and_b32_e32 v1, v4, v10
	v_and_b32_e32 v2, v5, v11
	v_mul_lo_u32 v2, v2, 24
	v_mul_hi_u32 v4, v1, 24
	v_mul_lo_u32 v1, v1, 24
	v_add_u32_e32 v2, v4, v2
	s_waitcnt vmcnt(0)
	v_add_co_u32_e32 v4, vcc, v8, v1
	v_addc_co_u32_e32 v5, vcc, v9, v2, vcc
	global_load_dwordx2 v[8:9], v[4:5], off glc
	s_waitcnt vmcnt(0)
	global_atomic_cmpswap_x2 v[4:5], v35, v[8:11], s[2:3] offset:24 glc
	s_waitcnt vmcnt(0)
	buffer_invl2
	buffer_wbinvl1_vol
	v_cmp_ne_u64_e32 vcc, v[4:5], v[10:11]
	s_and_saveexec_b64 s[16:17], vcc
	s_cbranch_execz .LBB5_1039
; %bb.1036:                             ;   in Loop: Header=BB5_3 Depth=1
	s_mov_b64 s[18:19], 0
.LBB5_1037:                             ;   Parent Loop BB5_3 Depth=1
                                        ; =>  This Inner Loop Header: Depth=2
	s_sleep 1
	global_load_dwordx2 v[8:9], v35, s[2:3] offset:40
	global_load_dwordx2 v[14:15], v35, s[2:3]
	v_pk_mov_b32 v[10:11], v[4:5], v[4:5] op_sel:[0,1]
	s_waitcnt vmcnt(1)
	v_and_b32_e32 v2, v8, v10
	s_waitcnt vmcnt(0)
	v_mad_u64_u32 v[4:5], s[20:21], v2, 24, v[14:15]
	v_and_b32_e32 v1, v9, v11
	v_mov_b32_e32 v2, v5
	v_mad_u64_u32 v[8:9], s[20:21], v1, 24, v[2:3]
	v_mov_b32_e32 v5, v8
	global_load_dwordx2 v[8:9], v[4:5], off glc
	s_waitcnt vmcnt(0)
	global_atomic_cmpswap_x2 v[4:5], v35, v[8:11], s[2:3] offset:24 glc
	s_waitcnt vmcnt(0)
	buffer_invl2
	buffer_wbinvl1_vol
	v_cmp_eq_u64_e32 vcc, v[4:5], v[10:11]
	s_or_b64 s[18:19], vcc, s[18:19]
	s_andn2_b64 exec, exec, s[18:19]
	s_cbranch_execnz .LBB5_1037
; %bb.1038:                             ;   in Loop: Header=BB5_3 Depth=1
	s_or_b64 exec, exec, s[18:19]
.LBB5_1039:                             ;   in Loop: Header=BB5_3 Depth=1
	s_or_b64 exec, exec, s[16:17]
.LBB5_1040:                             ;   in Loop: Header=BB5_3 Depth=1
	s_or_b64 exec, exec, s[14:15]
	global_load_dwordx2 v[14:15], v35, s[2:3] offset:40
	global_load_dwordx4 v[8:11], v35, s[2:3]
	v_readfirstlane_b32 s14, v4
	v_readfirstlane_b32 s15, v5
	s_mov_b64 s[16:17], exec
	s_waitcnt vmcnt(1)
	v_readfirstlane_b32 s18, v14
	v_readfirstlane_b32 s19, v15
	s_and_b64 s[18:19], s[14:15], s[18:19]
	s_mul_i32 s20, s19, 24
	s_mul_hi_u32 s21, s18, 24
	s_mul_i32 s22, s18, 24
	s_add_i32 s20, s21, s20
	v_mov_b32_e32 v1, s20
	s_waitcnt vmcnt(0)
	v_add_co_u32_e32 v16, vcc, s22, v8
	v_addc_co_u32_e32 v17, vcc, v9, v1, vcc
	s_and_saveexec_b64 s[20:21], s[0:1]
	s_cbranch_execz .LBB5_1042
; %bb.1041:                             ;   in Loop: Header=BB5_3 Depth=1
	v_pk_mov_b32 v[4:5], s[16:17], s[16:17] op_sel:[0,1]
	global_store_dwordx4 v[16:17], v[4:7], off offset:8
.LBB5_1042:                             ;   in Loop: Header=BB5_3 Depth=1
	s_or_b64 exec, exec, s[20:21]
	s_lshl_b64 s[16:17], s[18:19], 12
	v_mov_b32_e32 v1, s17
	v_add_co_u32_e32 v4, vcc, s16, v10
	v_addc_co_u32_e32 v1, vcc, v11, v1, vcc
	v_and_or_b32 v12, v12, s29, 32
	v_mov_b32_e32 v14, v3
	v_mov_b32_e32 v15, v3
	v_readfirstlane_b32 s16, v4
	v_readfirstlane_b32 s17, v1
	s_nop 4
	global_store_dwordx4 v49, v[12:15], s[16:17]
	s_nop 0
	v_pk_mov_b32 v[12:13], s[10:11], s[10:11] op_sel:[0,1]
	v_pk_mov_b32 v[10:11], s[8:9], s[8:9] op_sel:[0,1]
	global_store_dwordx4 v49, v[10:13], s[16:17] offset:16
	global_store_dwordx4 v49, v[10:13], s[16:17] offset:32
	;; [unrolled: 1-line block ×3, first 2 shown]
	s_and_saveexec_b64 s[16:17], s[0:1]
	s_cbranch_execz .LBB5_1050
; %bb.1043:                             ;   in Loop: Header=BB5_3 Depth=1
	global_load_dwordx2 v[20:21], v35, s[2:3] offset:32 glc
	global_load_dwordx2 v[10:11], v35, s[2:3] offset:40
	v_mov_b32_e32 v18, s14
	v_mov_b32_e32 v19, s15
	s_waitcnt vmcnt(0)
	v_readfirstlane_b32 s18, v10
	v_readfirstlane_b32 s19, v11
	s_and_b64 s[18:19], s[18:19], s[14:15]
	s_mul_i32 s19, s19, 24
	s_mul_hi_u32 s20, s18, 24
	s_mul_i32 s18, s18, 24
	s_add_i32 s19, s20, s19
	v_mov_b32_e32 v2, s19
	v_add_co_u32_e32 v12, vcc, s18, v8
	v_addc_co_u32_e32 v13, vcc, v9, v2, vcc
	global_store_dwordx2 v[12:13], v[20:21], off
	buffer_wbl2
	s_waitcnt vmcnt(0)
	global_atomic_cmpswap_x2 v[10:11], v35, v[18:21], s[2:3] offset:32 glc
	s_waitcnt vmcnt(0)
	v_cmp_ne_u64_e32 vcc, v[10:11], v[20:21]
	s_and_saveexec_b64 s[18:19], vcc
	s_cbranch_execz .LBB5_1046
; %bb.1044:                             ;   in Loop: Header=BB5_3 Depth=1
	s_mov_b64 s[20:21], 0
.LBB5_1045:                             ;   Parent Loop BB5_3 Depth=1
                                        ; =>  This Inner Loop Header: Depth=2
	s_sleep 1
	global_store_dwordx2 v[12:13], v[10:11], off
	v_mov_b32_e32 v8, s14
	v_mov_b32_e32 v9, s15
	buffer_wbl2
	s_waitcnt vmcnt(0)
	global_atomic_cmpswap_x2 v[8:9], v35, v[8:11], s[2:3] offset:32 glc
	s_waitcnt vmcnt(0)
	v_cmp_eq_u64_e32 vcc, v[8:9], v[10:11]
	s_or_b64 s[20:21], vcc, s[20:21]
	v_pk_mov_b32 v[10:11], v[8:9], v[8:9] op_sel:[0,1]
	s_andn2_b64 exec, exec, s[20:21]
	s_cbranch_execnz .LBB5_1045
.LBB5_1046:                             ;   in Loop: Header=BB5_3 Depth=1
	s_or_b64 exec, exec, s[18:19]
	global_load_dwordx2 v[8:9], v35, s[2:3] offset:16
	s_mov_b64 s[20:21], exec
	v_mbcnt_lo_u32_b32 v2, s20, 0
	v_mbcnt_hi_u32_b32 v2, s21, v2
	v_cmp_eq_u32_e32 vcc, 0, v2
	s_and_saveexec_b64 s[18:19], vcc
	s_cbranch_execz .LBB5_1048
; %bb.1047:                             ;   in Loop: Header=BB5_3 Depth=1
	s_bcnt1_i32_b64 s20, s[20:21]
	v_mov_b32_e32 v2, s20
	buffer_wbl2
	s_waitcnt vmcnt(0)
	global_atomic_add_x2 v[8:9], v[2:3], off offset:8
.LBB5_1048:                             ;   in Loop: Header=BB5_3 Depth=1
	s_or_b64 exec, exec, s[18:19]
	s_waitcnt vmcnt(0)
	global_load_dwordx2 v[10:11], v[8:9], off offset:16
	s_waitcnt vmcnt(0)
	v_cmp_eq_u64_e32 vcc, 0, v[10:11]
	s_cbranch_vccnz .LBB5_1050
; %bb.1049:                             ;   in Loop: Header=BB5_3 Depth=1
	global_load_dword v34, v[8:9], off offset:24
	s_waitcnt vmcnt(0)
	v_and_b32_e32 v2, 0xffffff, v34
	v_readfirstlane_b32 m0, v2
	buffer_wbl2
	global_store_dwordx2 v[10:11], v[34:35], off
	s_sendmsg sendmsg(MSG_INTERRUPT)
.LBB5_1050:                             ;   in Loop: Header=BB5_3 Depth=1
	s_or_b64 exec, exec, s[16:17]
	v_add_co_u32_e32 v4, vcc, v4, v49
	v_addc_co_u32_e32 v5, vcc, 0, v1, vcc
	s_branch .LBB5_1054
.LBB5_1051:                             ;   in Loop: Header=BB5_1054 Depth=2
	s_or_b64 exec, exec, s[16:17]
	v_readfirstlane_b32 s16, v1
	s_cmp_eq_u32 s16, 0
	s_cbranch_scc1 .LBB5_1053
; %bb.1052:                             ;   in Loop: Header=BB5_1054 Depth=2
	s_sleep 1
	s_cbranch_execnz .LBB5_1054
	s_branch .LBB5_1056
.LBB5_1053:                             ;   in Loop: Header=BB5_3 Depth=1
	s_branch .LBB5_1056
.LBB5_1054:                             ;   Parent Loop BB5_3 Depth=1
                                        ; =>  This Inner Loop Header: Depth=2
	v_mov_b32_e32 v1, 1
	s_and_saveexec_b64 s[16:17], s[0:1]
	s_cbranch_execz .LBB5_1051
; %bb.1055:                             ;   in Loop: Header=BB5_1054 Depth=2
	global_load_dword v1, v[16:17], off offset:20 glc
	s_waitcnt vmcnt(0)
	buffer_invl2
	buffer_wbinvl1_vol
	v_and_b32_e32 v1, 1, v1
	s_branch .LBB5_1051
.LBB5_1056:                             ;   in Loop: Header=BB5_3 Depth=1
	global_load_dwordx2 v[8:9], v[4:5], off
	s_and_saveexec_b64 s[16:17], s[0:1]
	s_cbranch_execz .LBB5_1060
; %bb.1057:                             ;   in Loop: Header=BB5_3 Depth=1
	global_load_dwordx2 v[4:5], v35, s[2:3] offset:40
	global_load_dwordx2 v[14:15], v35, s[2:3] offset:24 glc
	global_load_dwordx2 v[16:17], v35, s[2:3]
	v_mov_b32_e32 v1, s15
	s_waitcnt vmcnt(2)
	v_add_co_u32_e32 v2, vcc, 1, v4
	v_addc_co_u32_e32 v13, vcc, 0, v5, vcc
	v_add_co_u32_e32 v10, vcc, s14, v2
	v_addc_co_u32_e32 v11, vcc, v13, v1, vcc
	v_cmp_eq_u64_e32 vcc, 0, v[10:11]
	v_cndmask_b32_e32 v11, v11, v13, vcc
	v_cndmask_b32_e32 v10, v10, v2, vcc
	v_and_b32_e32 v1, v11, v5
	v_and_b32_e32 v2, v10, v4
	v_mul_lo_u32 v1, v1, 24
	v_mul_hi_u32 v4, v2, 24
	v_mul_lo_u32 v2, v2, 24
	v_add_u32_e32 v1, v4, v1
	s_waitcnt vmcnt(0)
	v_add_co_u32_e32 v4, vcc, v16, v2
	v_addc_co_u32_e32 v5, vcc, v17, v1, vcc
	v_mov_b32_e32 v12, v14
	global_store_dwordx2 v[4:5], v[14:15], off
	v_mov_b32_e32 v13, v15
	buffer_wbl2
	s_waitcnt vmcnt(0)
	global_atomic_cmpswap_x2 v[12:13], v35, v[10:13], s[2:3] offset:24 glc
	s_waitcnt vmcnt(0)
	v_cmp_ne_u64_e32 vcc, v[12:13], v[14:15]
	s_and_b64 exec, exec, vcc
	s_cbranch_execz .LBB5_1060
; %bb.1058:                             ;   in Loop: Header=BB5_3 Depth=1
	s_mov_b64 s[0:1], 0
.LBB5_1059:                             ;   Parent Loop BB5_3 Depth=1
                                        ; =>  This Inner Loop Header: Depth=2
	s_sleep 1
	global_store_dwordx2 v[4:5], v[12:13], off
	buffer_wbl2
	s_waitcnt vmcnt(0)
	global_atomic_cmpswap_x2 v[14:15], v35, v[10:13], s[2:3] offset:24 glc
	s_waitcnt vmcnt(0)
	v_cmp_eq_u64_e32 vcc, v[14:15], v[12:13]
	s_or_b64 s[0:1], vcc, s[0:1]
	v_pk_mov_b32 v[12:13], v[14:15], v[14:15] op_sel:[0,1]
	s_andn2_b64 exec, exec, s[0:1]
	s_cbranch_execnz .LBB5_1059
.LBB5_1060:                             ;   in Loop: Header=BB5_3 Depth=1
	s_or_b64 exec, exec, s[16:17]
	s_and_b64 vcc, exec, s[12:13]
	s_cbranch_vccnz .LBB5_949
.LBB5_1061:                             ;   in Loop: Header=BB5_3 Depth=1
                                        ; implicit-def: $vgpr10_vgpr11
	s_cbranch_execz .LBB5_1089
; %bb.1062:                             ;   in Loop: Header=BB5_3 Depth=1
	v_readfirstlane_b32 s0, v32
	v_cmp_eq_u32_e64 s[0:1], s0, v32
	v_pk_mov_b32 v[4:5], 0, 0
	s_and_saveexec_b64 s[14:15], s[0:1]
	s_cbranch_execz .LBB5_1068
; %bb.1063:                             ;   in Loop: Header=BB5_3 Depth=1
	global_load_dwordx2 v[12:13], v35, s[2:3] offset:24 glc
	s_waitcnt vmcnt(0)
	buffer_invl2
	buffer_wbinvl1_vol
	global_load_dwordx2 v[4:5], v35, s[2:3] offset:40
	global_load_dwordx2 v[10:11], v35, s[2:3]
	s_waitcnt vmcnt(1)
	v_and_b32_e32 v1, v4, v12
	v_and_b32_e32 v2, v5, v13
	v_mul_lo_u32 v2, v2, 24
	v_mul_hi_u32 v4, v1, 24
	v_mul_lo_u32 v1, v1, 24
	v_add_u32_e32 v2, v4, v2
	s_waitcnt vmcnt(0)
	v_add_co_u32_e32 v4, vcc, v10, v1
	v_addc_co_u32_e32 v5, vcc, v11, v2, vcc
	global_load_dwordx2 v[10:11], v[4:5], off glc
	s_waitcnt vmcnt(0)
	global_atomic_cmpswap_x2 v[4:5], v35, v[10:13], s[2:3] offset:24 glc
	s_waitcnt vmcnt(0)
	buffer_invl2
	buffer_wbinvl1_vol
	v_cmp_ne_u64_e32 vcc, v[4:5], v[12:13]
	s_and_saveexec_b64 s[16:17], vcc
	s_cbranch_execz .LBB5_1067
; %bb.1064:                             ;   in Loop: Header=BB5_3 Depth=1
	s_mov_b64 s[18:19], 0
.LBB5_1065:                             ;   Parent Loop BB5_3 Depth=1
                                        ; =>  This Inner Loop Header: Depth=2
	s_sleep 1
	global_load_dwordx2 v[10:11], v35, s[2:3] offset:40
	global_load_dwordx2 v[14:15], v35, s[2:3]
	v_pk_mov_b32 v[12:13], v[4:5], v[4:5] op_sel:[0,1]
	s_waitcnt vmcnt(1)
	v_and_b32_e32 v2, v10, v12
	s_waitcnt vmcnt(0)
	v_mad_u64_u32 v[4:5], s[20:21], v2, 24, v[14:15]
	v_and_b32_e32 v1, v11, v13
	v_mov_b32_e32 v2, v5
	v_mad_u64_u32 v[10:11], s[20:21], v1, 24, v[2:3]
	v_mov_b32_e32 v5, v10
	global_load_dwordx2 v[10:11], v[4:5], off glc
	s_waitcnt vmcnt(0)
	global_atomic_cmpswap_x2 v[4:5], v35, v[10:13], s[2:3] offset:24 glc
	s_waitcnt vmcnt(0)
	buffer_invl2
	buffer_wbinvl1_vol
	v_cmp_eq_u64_e32 vcc, v[4:5], v[12:13]
	s_or_b64 s[18:19], vcc, s[18:19]
	s_andn2_b64 exec, exec, s[18:19]
	s_cbranch_execnz .LBB5_1065
; %bb.1066:                             ;   in Loop: Header=BB5_3 Depth=1
	s_or_b64 exec, exec, s[18:19]
.LBB5_1067:                             ;   in Loop: Header=BB5_3 Depth=1
	s_or_b64 exec, exec, s[16:17]
.LBB5_1068:                             ;   in Loop: Header=BB5_3 Depth=1
	s_or_b64 exec, exec, s[14:15]
	global_load_dwordx2 v[10:11], v35, s[2:3] offset:40
	global_load_dwordx4 v[12:15], v35, s[2:3]
	v_readfirstlane_b32 s14, v4
	v_readfirstlane_b32 s15, v5
	s_mov_b64 s[16:17], exec
	s_waitcnt vmcnt(1)
	v_readfirstlane_b32 s18, v10
	v_readfirstlane_b32 s19, v11
	s_and_b64 s[18:19], s[14:15], s[18:19]
	s_mul_i32 s20, s19, 24
	s_mul_hi_u32 s21, s18, 24
	s_mul_i32 s22, s18, 24
	s_add_i32 s20, s21, s20
	v_mov_b32_e32 v1, s20
	s_waitcnt vmcnt(0)
	v_add_co_u32_e32 v16, vcc, s22, v12
	v_addc_co_u32_e32 v17, vcc, v13, v1, vcc
	s_and_saveexec_b64 s[20:21], s[0:1]
	s_cbranch_execz .LBB5_1070
; %bb.1069:                             ;   in Loop: Header=BB5_3 Depth=1
	v_pk_mov_b32 v[4:5], s[16:17], s[16:17] op_sel:[0,1]
	global_store_dwordx4 v[16:17], v[4:7], off offset:8
.LBB5_1070:                             ;   in Loop: Header=BB5_3 Depth=1
	s_or_b64 exec, exec, s[20:21]
	s_lshl_b64 s[16:17], s[18:19], 12
	v_mov_b32_e32 v1, s17
	v_add_co_u32_e32 v4, vcc, s16, v14
	v_addc_co_u32_e32 v1, vcc, v15, v1, vcc
	v_and_or_b32 v8, v8, s29, 32
	v_mov_b32_e32 v10, v3
	v_mov_b32_e32 v11, v3
	v_readfirstlane_b32 s16, v4
	v_readfirstlane_b32 s17, v1
	s_nop 4
	global_store_dwordx4 v49, v[8:11], s[16:17]
	s_nop 0
	v_pk_mov_b32 v[8:9], s[8:9], s[8:9] op_sel:[0,1]
	v_pk_mov_b32 v[10:11], s[10:11], s[10:11] op_sel:[0,1]
	global_store_dwordx4 v49, v[8:11], s[16:17] offset:16
	global_store_dwordx4 v49, v[8:11], s[16:17] offset:32
	;; [unrolled: 1-line block ×3, first 2 shown]
	s_and_saveexec_b64 s[16:17], s[0:1]
	s_cbranch_execz .LBB5_1078
; %bb.1071:                             ;   in Loop: Header=BB5_3 Depth=1
	global_load_dwordx2 v[20:21], v35, s[2:3] offset:32 glc
	global_load_dwordx2 v[8:9], v35, s[2:3] offset:40
	v_mov_b32_e32 v18, s14
	v_mov_b32_e32 v19, s15
	s_waitcnt vmcnt(0)
	v_readfirstlane_b32 s18, v8
	v_readfirstlane_b32 s19, v9
	s_and_b64 s[18:19], s[18:19], s[14:15]
	s_mul_i32 s19, s19, 24
	s_mul_hi_u32 s20, s18, 24
	s_mul_i32 s18, s18, 24
	s_add_i32 s19, s20, s19
	v_mov_b32_e32 v2, s19
	v_add_co_u32_e32 v12, vcc, s18, v12
	v_addc_co_u32_e32 v13, vcc, v13, v2, vcc
	global_store_dwordx2 v[12:13], v[20:21], off
	buffer_wbl2
	s_waitcnt vmcnt(0)
	global_atomic_cmpswap_x2 v[10:11], v35, v[18:21], s[2:3] offset:32 glc
	s_waitcnt vmcnt(0)
	v_cmp_ne_u64_e32 vcc, v[10:11], v[20:21]
	s_and_saveexec_b64 s[18:19], vcc
	s_cbranch_execz .LBB5_1074
; %bb.1072:                             ;   in Loop: Header=BB5_3 Depth=1
	s_mov_b64 s[20:21], 0
.LBB5_1073:                             ;   Parent Loop BB5_3 Depth=1
                                        ; =>  This Inner Loop Header: Depth=2
	s_sleep 1
	global_store_dwordx2 v[12:13], v[10:11], off
	v_mov_b32_e32 v8, s14
	v_mov_b32_e32 v9, s15
	buffer_wbl2
	s_waitcnt vmcnt(0)
	global_atomic_cmpswap_x2 v[8:9], v35, v[8:11], s[2:3] offset:32 glc
	s_waitcnt vmcnt(0)
	v_cmp_eq_u64_e32 vcc, v[8:9], v[10:11]
	s_or_b64 s[20:21], vcc, s[20:21]
	v_pk_mov_b32 v[10:11], v[8:9], v[8:9] op_sel:[0,1]
	s_andn2_b64 exec, exec, s[20:21]
	s_cbranch_execnz .LBB5_1073
.LBB5_1074:                             ;   in Loop: Header=BB5_3 Depth=1
	s_or_b64 exec, exec, s[18:19]
	global_load_dwordx2 v[8:9], v35, s[2:3] offset:16
	s_mov_b64 s[20:21], exec
	v_mbcnt_lo_u32_b32 v2, s20, 0
	v_mbcnt_hi_u32_b32 v2, s21, v2
	v_cmp_eq_u32_e32 vcc, 0, v2
	s_and_saveexec_b64 s[18:19], vcc
	s_cbranch_execz .LBB5_1076
; %bb.1075:                             ;   in Loop: Header=BB5_3 Depth=1
	s_bcnt1_i32_b64 s20, s[20:21]
	v_mov_b32_e32 v2, s20
	buffer_wbl2
	s_waitcnt vmcnt(0)
	global_atomic_add_x2 v[8:9], v[2:3], off offset:8
.LBB5_1076:                             ;   in Loop: Header=BB5_3 Depth=1
	s_or_b64 exec, exec, s[18:19]
	s_waitcnt vmcnt(0)
	global_load_dwordx2 v[10:11], v[8:9], off offset:16
	s_waitcnt vmcnt(0)
	v_cmp_eq_u64_e32 vcc, 0, v[10:11]
	s_cbranch_vccnz .LBB5_1078
; %bb.1077:                             ;   in Loop: Header=BB5_3 Depth=1
	global_load_dword v34, v[8:9], off offset:24
	s_waitcnt vmcnt(0)
	v_and_b32_e32 v2, 0xffffff, v34
	v_readfirstlane_b32 m0, v2
	buffer_wbl2
	global_store_dwordx2 v[10:11], v[34:35], off
	s_sendmsg sendmsg(MSG_INTERRUPT)
.LBB5_1078:                             ;   in Loop: Header=BB5_3 Depth=1
	s_or_b64 exec, exec, s[16:17]
	v_add_co_u32_e32 v4, vcc, v4, v49
	v_addc_co_u32_e32 v5, vcc, 0, v1, vcc
	s_branch .LBB5_1082
.LBB5_1079:                             ;   in Loop: Header=BB5_1082 Depth=2
	s_or_b64 exec, exec, s[16:17]
	v_readfirstlane_b32 s16, v1
	s_cmp_eq_u32 s16, 0
	s_cbranch_scc1 .LBB5_1081
; %bb.1080:                             ;   in Loop: Header=BB5_1082 Depth=2
	s_sleep 1
	s_cbranch_execnz .LBB5_1082
	s_branch .LBB5_1084
.LBB5_1081:                             ;   in Loop: Header=BB5_3 Depth=1
	s_branch .LBB5_1084
.LBB5_1082:                             ;   Parent Loop BB5_3 Depth=1
                                        ; =>  This Inner Loop Header: Depth=2
	v_mov_b32_e32 v1, 1
	s_and_saveexec_b64 s[16:17], s[0:1]
	s_cbranch_execz .LBB5_1079
; %bb.1083:                             ;   in Loop: Header=BB5_1082 Depth=2
	global_load_dword v1, v[16:17], off offset:20 glc
	s_waitcnt vmcnt(0)
	buffer_invl2
	buffer_wbinvl1_vol
	v_and_b32_e32 v1, 1, v1
	s_branch .LBB5_1079
.LBB5_1084:                             ;   in Loop: Header=BB5_3 Depth=1
	global_load_dwordx2 v[10:11], v[4:5], off
	s_and_saveexec_b64 s[16:17], s[0:1]
	s_cbranch_execz .LBB5_1088
; %bb.1085:                             ;   in Loop: Header=BB5_3 Depth=1
	global_load_dwordx2 v[4:5], v35, s[2:3] offset:40
	global_load_dwordx2 v[8:9], v35, s[2:3] offset:24 glc
	global_load_dwordx2 v[16:17], v35, s[2:3]
	v_mov_b32_e32 v1, s15
	s_waitcnt vmcnt(2)
	v_add_co_u32_e32 v2, vcc, 1, v4
	v_addc_co_u32_e32 v15, vcc, 0, v5, vcc
	v_add_co_u32_e32 v12, vcc, s14, v2
	v_addc_co_u32_e32 v13, vcc, v15, v1, vcc
	v_cmp_eq_u64_e32 vcc, 0, v[12:13]
	v_cndmask_b32_e32 v13, v13, v15, vcc
	v_cndmask_b32_e32 v12, v12, v2, vcc
	v_and_b32_e32 v1, v13, v5
	v_and_b32_e32 v2, v12, v4
	v_mul_lo_u32 v1, v1, 24
	v_mul_hi_u32 v4, v2, 24
	v_mul_lo_u32 v2, v2, 24
	v_add_u32_e32 v1, v4, v1
	s_waitcnt vmcnt(0)
	v_add_co_u32_e32 v4, vcc, v16, v2
	v_addc_co_u32_e32 v5, vcc, v17, v1, vcc
	v_mov_b32_e32 v14, v8
	global_store_dwordx2 v[4:5], v[8:9], off
	v_mov_b32_e32 v15, v9
	buffer_wbl2
	s_waitcnt vmcnt(0)
	global_atomic_cmpswap_x2 v[14:15], v35, v[12:15], s[2:3] offset:24 glc
	s_waitcnt vmcnt(0)
	v_cmp_ne_u64_e32 vcc, v[14:15], v[8:9]
	s_and_b64 exec, exec, vcc
	s_cbranch_execz .LBB5_1088
; %bb.1086:                             ;   in Loop: Header=BB5_3 Depth=1
	s_mov_b64 s[0:1], 0
.LBB5_1087:                             ;   Parent Loop BB5_3 Depth=1
                                        ; =>  This Inner Loop Header: Depth=2
	s_sleep 1
	global_store_dwordx2 v[4:5], v[14:15], off
	buffer_wbl2
	s_waitcnt vmcnt(0)
	global_atomic_cmpswap_x2 v[8:9], v35, v[12:15], s[2:3] offset:24 glc
	s_waitcnt vmcnt(0)
	v_cmp_eq_u64_e32 vcc, v[8:9], v[14:15]
	s_or_b64 s[0:1], vcc, s[0:1]
	v_pk_mov_b32 v[14:15], v[8:9], v[8:9] op_sel:[0,1]
	s_andn2_b64 exec, exec, s[0:1]
	s_cbranch_execnz .LBB5_1087
.LBB5_1088:                             ;   in Loop: Header=BB5_3 Depth=1
	s_or_b64 exec, exec, s[16:17]
.LBB5_1089:                             ;   in Loop: Header=BB5_3 Depth=1
	v_readfirstlane_b32 s0, v32
	v_cmp_eq_u32_e64 s[0:1], s0, v32
	v_pk_mov_b32 v[4:5], 0, 0
	s_and_saveexec_b64 s[14:15], s[0:1]
	s_cbranch_execz .LBB5_1095
; %bb.1090:                             ;   in Loop: Header=BB5_3 Depth=1
	global_load_dwordx2 v[14:15], v35, s[2:3] offset:24 glc
	s_waitcnt vmcnt(0)
	buffer_invl2
	buffer_wbinvl1_vol
	global_load_dwordx2 v[4:5], v35, s[2:3] offset:40
	global_load_dwordx2 v[8:9], v35, s[2:3]
	s_waitcnt vmcnt(1)
	v_and_b32_e32 v1, v4, v14
	v_and_b32_e32 v2, v5, v15
	v_mul_lo_u32 v2, v2, 24
	v_mul_hi_u32 v4, v1, 24
	v_mul_lo_u32 v1, v1, 24
	v_add_u32_e32 v2, v4, v2
	s_waitcnt vmcnt(0)
	v_add_co_u32_e32 v4, vcc, v8, v1
	v_addc_co_u32_e32 v5, vcc, v9, v2, vcc
	global_load_dwordx2 v[12:13], v[4:5], off glc
	s_waitcnt vmcnt(0)
	global_atomic_cmpswap_x2 v[4:5], v35, v[12:15], s[2:3] offset:24 glc
	s_waitcnt vmcnt(0)
	buffer_invl2
	buffer_wbinvl1_vol
	v_cmp_ne_u64_e32 vcc, v[4:5], v[14:15]
	s_and_saveexec_b64 s[16:17], vcc
	s_cbranch_execz .LBB5_1094
; %bb.1091:                             ;   in Loop: Header=BB5_3 Depth=1
	s_mov_b64 s[18:19], 0
.LBB5_1092:                             ;   Parent Loop BB5_3 Depth=1
                                        ; =>  This Inner Loop Header: Depth=2
	s_sleep 1
	global_load_dwordx2 v[8:9], v35, s[2:3] offset:40
	global_load_dwordx2 v[12:13], v35, s[2:3]
	v_pk_mov_b32 v[14:15], v[4:5], v[4:5] op_sel:[0,1]
	s_waitcnt vmcnt(1)
	v_and_b32_e32 v2, v8, v14
	s_waitcnt vmcnt(0)
	v_mad_u64_u32 v[4:5], s[20:21], v2, 24, v[12:13]
	v_and_b32_e32 v1, v9, v15
	v_mov_b32_e32 v2, v5
	v_mad_u64_u32 v[8:9], s[20:21], v1, 24, v[2:3]
	v_mov_b32_e32 v5, v8
	global_load_dwordx2 v[12:13], v[4:5], off glc
	s_waitcnt vmcnt(0)
	global_atomic_cmpswap_x2 v[4:5], v35, v[12:15], s[2:3] offset:24 glc
	s_waitcnt vmcnt(0)
	buffer_invl2
	buffer_wbinvl1_vol
	v_cmp_eq_u64_e32 vcc, v[4:5], v[14:15]
	s_or_b64 s[18:19], vcc, s[18:19]
	s_andn2_b64 exec, exec, s[18:19]
	s_cbranch_execnz .LBB5_1092
; %bb.1093:                             ;   in Loop: Header=BB5_3 Depth=1
	s_or_b64 exec, exec, s[18:19]
.LBB5_1094:                             ;   in Loop: Header=BB5_3 Depth=1
	s_or_b64 exec, exec, s[16:17]
.LBB5_1095:                             ;   in Loop: Header=BB5_3 Depth=1
	s_or_b64 exec, exec, s[14:15]
	global_load_dwordx2 v[8:9], v35, s[2:3] offset:40
	global_load_dwordx4 v[14:17], v35, s[2:3]
	v_readfirstlane_b32 s14, v4
	v_readfirstlane_b32 s15, v5
	s_mov_b64 s[16:17], exec
	s_waitcnt vmcnt(1)
	v_readfirstlane_b32 s18, v8
	v_readfirstlane_b32 s19, v9
	s_and_b64 s[18:19], s[14:15], s[18:19]
	s_mul_i32 s20, s19, 24
	s_mul_hi_u32 s21, s18, 24
	s_mul_i32 s22, s18, 24
	s_add_i32 s20, s21, s20
	v_mov_b32_e32 v1, s20
	s_waitcnt vmcnt(0)
	v_add_co_u32_e32 v18, vcc, s22, v14
	v_addc_co_u32_e32 v19, vcc, v15, v1, vcc
	s_and_saveexec_b64 s[20:21], s[0:1]
	s_cbranch_execz .LBB5_1097
; %bb.1096:                             ;   in Loop: Header=BB5_3 Depth=1
	v_pk_mov_b32 v[4:5], s[16:17], s[16:17] op_sel:[0,1]
	global_store_dwordx4 v[18:19], v[4:7], off offset:8
.LBB5_1097:                             ;   in Loop: Header=BB5_3 Depth=1
	s_or_b64 exec, exec, s[20:21]
	s_lshl_b64 s[16:17], s[18:19], 12
	v_mov_b32_e32 v1, s17
	v_add_co_u32_e32 v4, vcc, s16, v16
	v_addc_co_u32_e32 v1, vcc, v17, v1, vcc
	v_and_or_b32 v10, v10, s30, 34
	v_mov_b32_e32 v12, v37
	v_mov_b32_e32 v13, v3
	v_readfirstlane_b32 s16, v4
	v_readfirstlane_b32 s17, v1
	s_nop 4
	global_store_dwordx4 v49, v[10:13], s[16:17]
	v_pk_mov_b32 v[8:9], s[8:9], s[8:9] op_sel:[0,1]
	v_pk_mov_b32 v[10:11], s[10:11], s[10:11] op_sel:[0,1]
	global_store_dwordx4 v49, v[8:11], s[16:17] offset:16
	global_store_dwordx4 v49, v[8:11], s[16:17] offset:32
	;; [unrolled: 1-line block ×3, first 2 shown]
	s_and_saveexec_b64 s[16:17], s[0:1]
	s_cbranch_execz .LBB5_1105
; %bb.1098:                             ;   in Loop: Header=BB5_3 Depth=1
	global_load_dwordx2 v[22:23], v35, s[2:3] offset:32 glc
	global_load_dwordx2 v[8:9], v35, s[2:3] offset:40
	v_mov_b32_e32 v20, s14
	v_mov_b32_e32 v21, s15
	s_waitcnt vmcnt(0)
	v_readfirstlane_b32 s18, v8
	v_readfirstlane_b32 s19, v9
	s_and_b64 s[18:19], s[18:19], s[14:15]
	s_mul_i32 s19, s19, 24
	s_mul_hi_u32 s20, s18, 24
	s_mul_i32 s18, s18, 24
	s_add_i32 s19, s20, s19
	v_mov_b32_e32 v2, s19
	v_add_co_u32_e32 v12, vcc, s18, v14
	v_addc_co_u32_e32 v13, vcc, v15, v2, vcc
	global_store_dwordx2 v[12:13], v[22:23], off
	buffer_wbl2
	s_waitcnt vmcnt(0)
	global_atomic_cmpswap_x2 v[10:11], v35, v[20:23], s[2:3] offset:32 glc
	s_waitcnt vmcnt(0)
	v_cmp_ne_u64_e32 vcc, v[10:11], v[22:23]
	s_and_saveexec_b64 s[18:19], vcc
	s_cbranch_execz .LBB5_1101
; %bb.1099:                             ;   in Loop: Header=BB5_3 Depth=1
	s_mov_b64 s[20:21], 0
.LBB5_1100:                             ;   Parent Loop BB5_3 Depth=1
                                        ; =>  This Inner Loop Header: Depth=2
	s_sleep 1
	global_store_dwordx2 v[12:13], v[10:11], off
	v_mov_b32_e32 v8, s14
	v_mov_b32_e32 v9, s15
	buffer_wbl2
	s_waitcnt vmcnt(0)
	global_atomic_cmpswap_x2 v[8:9], v35, v[8:11], s[2:3] offset:32 glc
	s_waitcnt vmcnt(0)
	v_cmp_eq_u64_e32 vcc, v[8:9], v[10:11]
	s_or_b64 s[20:21], vcc, s[20:21]
	v_pk_mov_b32 v[10:11], v[8:9], v[8:9] op_sel:[0,1]
	s_andn2_b64 exec, exec, s[20:21]
	s_cbranch_execnz .LBB5_1100
.LBB5_1101:                             ;   in Loop: Header=BB5_3 Depth=1
	s_or_b64 exec, exec, s[18:19]
	global_load_dwordx2 v[8:9], v35, s[2:3] offset:16
	s_mov_b64 s[20:21], exec
	v_mbcnt_lo_u32_b32 v2, s20, 0
	v_mbcnt_hi_u32_b32 v2, s21, v2
	v_cmp_eq_u32_e32 vcc, 0, v2
	s_and_saveexec_b64 s[18:19], vcc
	s_cbranch_execz .LBB5_1103
; %bb.1102:                             ;   in Loop: Header=BB5_3 Depth=1
	s_bcnt1_i32_b64 s20, s[20:21]
	v_mov_b32_e32 v2, s20
	buffer_wbl2
	s_waitcnt vmcnt(0)
	global_atomic_add_x2 v[8:9], v[2:3], off offset:8
.LBB5_1103:                             ;   in Loop: Header=BB5_3 Depth=1
	s_or_b64 exec, exec, s[18:19]
	s_waitcnt vmcnt(0)
	global_load_dwordx2 v[10:11], v[8:9], off offset:16
	s_waitcnt vmcnt(0)
	v_cmp_eq_u64_e32 vcc, 0, v[10:11]
	s_cbranch_vccnz .LBB5_1105
; %bb.1104:                             ;   in Loop: Header=BB5_3 Depth=1
	global_load_dword v34, v[8:9], off offset:24
	s_waitcnt vmcnt(0)
	v_and_b32_e32 v2, 0xffffff, v34
	v_readfirstlane_b32 m0, v2
	buffer_wbl2
	global_store_dwordx2 v[10:11], v[34:35], off
	s_sendmsg sendmsg(MSG_INTERRUPT)
.LBB5_1105:                             ;   in Loop: Header=BB5_3 Depth=1
	s_or_b64 exec, exec, s[16:17]
	v_add_co_u32_e32 v4, vcc, v4, v49
	v_addc_co_u32_e32 v5, vcc, 0, v1, vcc
	s_branch .LBB5_1109
.LBB5_1106:                             ;   in Loop: Header=BB5_1109 Depth=2
	s_or_b64 exec, exec, s[16:17]
	v_readfirstlane_b32 s16, v1
	s_cmp_eq_u32 s16, 0
	s_cbranch_scc1 .LBB5_1108
; %bb.1107:                             ;   in Loop: Header=BB5_1109 Depth=2
	s_sleep 1
	s_cbranch_execnz .LBB5_1109
	s_branch .LBB5_1111
.LBB5_1108:                             ;   in Loop: Header=BB5_3 Depth=1
	s_branch .LBB5_1111
.LBB5_1109:                             ;   Parent Loop BB5_3 Depth=1
                                        ; =>  This Inner Loop Header: Depth=2
	v_mov_b32_e32 v1, 1
	s_and_saveexec_b64 s[16:17], s[0:1]
	s_cbranch_execz .LBB5_1106
; %bb.1110:                             ;   in Loop: Header=BB5_1109 Depth=2
	global_load_dword v1, v[18:19], off offset:20 glc
	s_waitcnt vmcnt(0)
	buffer_invl2
	buffer_wbinvl1_vol
	v_and_b32_e32 v1, 1, v1
	s_branch .LBB5_1106
.LBB5_1111:                             ;   in Loop: Header=BB5_3 Depth=1
	global_load_dwordx2 v[4:5], v[4:5], off
	s_and_saveexec_b64 s[16:17], s[0:1]
	s_cbranch_execz .LBB5_2
; %bb.1112:                             ;   in Loop: Header=BB5_3 Depth=1
	global_load_dwordx2 v[12:13], v35, s[2:3] offset:40
	global_load_dwordx2 v[14:15], v35, s[2:3] offset:24 glc
	global_load_dwordx2 v[16:17], v35, s[2:3]
	v_mov_b32_e32 v1, s15
	s_waitcnt vmcnt(2)
	v_add_co_u32_e32 v2, vcc, 1, v12
	v_addc_co_u32_e32 v5, vcc, 0, v13, vcc
	v_add_co_u32_e32 v8, vcc, s14, v2
	v_addc_co_u32_e32 v9, vcc, v5, v1, vcc
	v_cmp_eq_u64_e32 vcc, 0, v[8:9]
	v_cndmask_b32_e32 v9, v9, v5, vcc
	v_cndmask_b32_e32 v8, v8, v2, vcc
	v_and_b32_e32 v1, v9, v13
	v_and_b32_e32 v2, v8, v12
	v_mul_lo_u32 v1, v1, 24
	v_mul_hi_u32 v5, v2, 24
	v_mul_lo_u32 v2, v2, 24
	v_add_u32_e32 v1, v5, v1
	s_waitcnt vmcnt(0)
	v_add_co_u32_e32 v12, vcc, v16, v2
	v_addc_co_u32_e32 v13, vcc, v17, v1, vcc
	v_mov_b32_e32 v10, v14
	global_store_dwordx2 v[12:13], v[14:15], off
	v_mov_b32_e32 v11, v15
	buffer_wbl2
	s_waitcnt vmcnt(0)
	global_atomic_cmpswap_x2 v[10:11], v35, v[8:11], s[2:3] offset:24 glc
	s_waitcnt vmcnt(0)
	v_cmp_ne_u64_e32 vcc, v[10:11], v[14:15]
	s_and_b64 exec, exec, vcc
	s_cbranch_execz .LBB5_2
; %bb.1113:                             ;   in Loop: Header=BB5_3 Depth=1
	s_mov_b64 s[0:1], 0
.LBB5_1114:                             ;   Parent Loop BB5_3 Depth=1
                                        ; =>  This Inner Loop Header: Depth=2
	s_sleep 1
	global_store_dwordx2 v[12:13], v[10:11], off
	buffer_wbl2
	s_waitcnt vmcnt(0)
	global_atomic_cmpswap_x2 v[14:15], v35, v[8:11], s[2:3] offset:24 glc
	s_waitcnt vmcnt(0)
	v_cmp_eq_u64_e32 vcc, v[14:15], v[10:11]
	s_or_b64 s[0:1], vcc, s[0:1]
	v_pk_mov_b32 v[10:11], v[14:15], v[14:15] op_sel:[0,1]
	s_andn2_b64 exec, exec, s[0:1]
	s_cbranch_execnz .LBB5_1114
	s_branch .LBB5_2
.LBB5_1115:
	s_load_dwordx2 s[0:1], s[6:7], 0x8
	v_mov_b32_e32 v31, 0
	v_lshlrev_b64 v[0:1], 2, v[30:31]
	s_waitcnt lgkmcnt(0)
	v_mov_b32_e32 v2, s1
	v_add_co_u32_e32 v0, vcc, s0, v0
	v_addc_co_u32_e32 v1, vcc, v2, v1, vcc
	global_store_dword v[0:1], v48, off
	s_endpgm
	.section	.rodata,"a",@progbits
	.p2align	6, 0x0
	.amdhsa_kernel _ZN19hipPrintfStressTest28kernel_dependent_calc_atomicEjPi
		.amdhsa_group_segment_fixed_size 16384
		.amdhsa_private_segment_fixed_size 0
		.amdhsa_kernarg_size 272
		.amdhsa_user_sgpr_count 8
		.amdhsa_user_sgpr_private_segment_buffer 1
		.amdhsa_user_sgpr_dispatch_ptr 1
		.amdhsa_user_sgpr_queue_ptr 0
		.amdhsa_user_sgpr_kernarg_segment_ptr 1
		.amdhsa_user_sgpr_dispatch_id 0
		.amdhsa_user_sgpr_flat_scratch_init 0
		.amdhsa_user_sgpr_kernarg_preload_length 0
		.amdhsa_user_sgpr_kernarg_preload_offset 0
		.amdhsa_user_sgpr_private_segment_size 0
		.amdhsa_uses_dynamic_stack 0
		.amdhsa_system_sgpr_private_segment_wavefront_offset 0
		.amdhsa_system_sgpr_workgroup_id_x 1
		.amdhsa_system_sgpr_workgroup_id_y 0
		.amdhsa_system_sgpr_workgroup_id_z 0
		.amdhsa_system_sgpr_workgroup_info 0
		.amdhsa_system_vgpr_workitem_id 2
		.amdhsa_next_free_vgpr 50
		.amdhsa_next_free_sgpr 34
		.amdhsa_accum_offset 52
		.amdhsa_reserve_vcc 1
		.amdhsa_reserve_flat_scratch 0
		.amdhsa_float_round_mode_32 0
		.amdhsa_float_round_mode_16_64 0
		.amdhsa_float_denorm_mode_32 3
		.amdhsa_float_denorm_mode_16_64 3
		.amdhsa_dx10_clamp 1
		.amdhsa_ieee_mode 1
		.amdhsa_fp16_overflow 0
		.amdhsa_tg_split 0
		.amdhsa_exception_fp_ieee_invalid_op 0
		.amdhsa_exception_fp_denorm_src 0
		.amdhsa_exception_fp_ieee_div_zero 0
		.amdhsa_exception_fp_ieee_overflow 0
		.amdhsa_exception_fp_ieee_underflow 0
		.amdhsa_exception_fp_ieee_inexact 0
		.amdhsa_exception_int_div_zero 0
	.end_amdhsa_kernel
	.text
.Lfunc_end5:
	.size	_ZN19hipPrintfStressTest28kernel_dependent_calc_atomicEjPi, .Lfunc_end5-_ZN19hipPrintfStressTest28kernel_dependent_calc_atomicEjPi
                                        ; -- End function
	.section	.AMDGPU.csdata,"",@progbits
; Kernel info:
; codeLenInByte = 38084
; NumSgprs: 38
; NumVgprs: 50
; NumAgprs: 0
; TotalNumVgprs: 50
; ScratchSize: 0
; MemoryBound: 0
; FloatMode: 240
; IeeeMode: 1
; LDSByteSize: 16384 bytes/workgroup (compile time only)
; SGPRBlocks: 4
; VGPRBlocks: 6
; NumSGPRsForWavesPerEU: 38
; NumVGPRsForWavesPerEU: 50
; AccumOffset: 52
; Occupancy: 8
; WaveLimiterHint : 1
; COMPUTE_PGM_RSRC2:SCRATCH_EN: 0
; COMPUTE_PGM_RSRC2:USER_SGPR: 8
; COMPUTE_PGM_RSRC2:TRAP_HANDLER: 0
; COMPUTE_PGM_RSRC2:TGID_X_EN: 1
; COMPUTE_PGM_RSRC2:TGID_Y_EN: 0
; COMPUTE_PGM_RSRC2:TGID_Z_EN: 0
; COMPUTE_PGM_RSRC2:TIDIG_COMP_CNT: 2
; COMPUTE_PGM_RSRC3_GFX90A:ACCUM_OFFSET: 12
; COMPUTE_PGM_RSRC3_GFX90A:TG_SPLIT: 0
	.text
	.protected	_ZN19hipPrintfStressTest26kernel_decimal_calculationEji ; -- Begin function _ZN19hipPrintfStressTest26kernel_decimal_calculationEji
	.globl	_ZN19hipPrintfStressTest26kernel_decimal_calculationEji
	.p2align	8
	.type	_ZN19hipPrintfStressTest26kernel_decimal_calculationEji,@function
_ZN19hipPrintfStressTest26kernel_decimal_calculationEji: ; @_ZN19hipPrintfStressTest26kernel_decimal_calculationEji
; %bb.0:
	s_load_dwordx2 s[8:9], s[4:5], 0x0
	s_waitcnt lgkmcnt(0)
	s_cmp_lt_i32 s8, 1
	s_cbranch_scc1 .LBB6_362
; %bb.1:
	s_cmp_gt_i32 s9, -1
	s_cselect_b64 s[0:1], -1, 0
	s_add_u32 s10, s4, 8
	s_addc_u32 s11, s5, 0
	s_getpc_b64 s[2:3]
	s_add_u32 s2, s2, .str.9@rel32@lo+4
	s_addc_u32 s3, s3, .str.9@rel32@hi+12
	s_cmp_lg_u64 s[2:3], 0
	s_cselect_b64 s[12:13], -1, 0
	s_getpc_b64 s[2:3]
	s_add_u32 s2, s2, .str.8@rel32@lo+4
	s_addc_u32 s3, s3, .str.8@rel32@hi+12
	v_cndmask_b32_e64 v0, 0, 1, s[0:1]
	s_mov_b32 s33, 0
	s_cmp_lg_u64 s[2:3], 0
	v_cmp_ne_u32_e64 s[0:1], 1, v0
	v_mbcnt_lo_u32_b32 v0, -1, 0
	s_cselect_b64 s[14:15], -1, 0
	v_mov_b32_e32 v3, 0
	s_mov_b32 s4, s33
	s_mov_b32 s5, s33
	;; [unrolled: 1-line block ×4, first 2 shown]
	s_movk_i32 s34, 0xff1f
	v_mov_b32_e32 v6, 0x54411744
	v_mov_b32_e32 v7, 0x400921fb
	s_movk_i32 s35, 0xff1d
	v_mov_b32_e32 v10, 0x1cf5e000
	v_mov_b32_e32 v11, 0x4286dbac
	v_mbcnt_hi_u32_b32 v38, -1, v0
	v_mov_b32_e32 v14, 2
	v_mov_b32_e32 v15, 1
	;; [unrolled: 1-line block ×3, first 2 shown]
	s_mov_b32 s36, 0
	s_branch .LBB6_3
.LBB6_2:                                ;   in Loop: Header=BB6_3 Depth=1
	s_add_i32 s36, s36, 1
	s_cmp_eq_u32 s36, s8
	s_cbranch_scc1 .LBB6_362
.LBB6_3:                                ; =>This Loop Header: Depth=1
                                        ;     Child Loop BB6_6 Depth 2
                                        ;       Child Loop BB6_9 Depth 3
                                        ;       Child Loop BB6_17 Depth 3
	;; [unrolled: 1-line block ×9, first 2 shown]
                                        ;         Child Loop BB6_38 Depth 4
                                        ;         Child Loop BB6_45 Depth 4
	;; [unrolled: 1-line block ×11, first 2 shown]
                                        ;       Child Loop BB6_234 Depth 3
                                        ;       Child Loop BB6_242 Depth 3
	;; [unrolled: 1-line block ×5, first 2 shown]
                                        ;         Child Loop BB6_123 Depth 4
                                        ;         Child Loop BB6_130 Depth 4
	;; [unrolled: 1-line block ×11, first 2 shown]
                                        ;       Child Loop BB6_261 Depth 3
                                        ;       Child Loop BB6_269 Depth 3
	;; [unrolled: 1-line block ×16, first 2 shown]
	s_and_b64 vcc, exec, s[0:1]
	s_cbranch_vccnz .LBB6_2
; %bb.4:                                ;   in Loop: Header=BB6_3 Depth=1
	s_load_dwordx2 s[16:17], s[10:11], 0x50
	s_mov_b32 s37, 0
	v_lshlrev_b32_e32 v39, 6, v38
	s_branch .LBB6_6
.LBB6_5:                                ;   in Loop: Header=BB6_6 Depth=2
	s_or_b64 exec, exec, s[20:21]
	s_add_i32 s2, s37, 1
	s_cmp_lg_u32 s37, s9
	s_mov_b32 s37, s2
	s_cbranch_scc0 .LBB6_2
.LBB6_6:                                ;   Parent Loop BB6_3 Depth=1
                                        ; =>  This Loop Header: Depth=2
                                        ;       Child Loop BB6_9 Depth 3
                                        ;       Child Loop BB6_17 Depth 3
	;; [unrolled: 1-line block ×9, first 2 shown]
                                        ;         Child Loop BB6_38 Depth 4
                                        ;         Child Loop BB6_45 Depth 4
	;; [unrolled: 1-line block ×11, first 2 shown]
                                        ;       Child Loop BB6_234 Depth 3
                                        ;       Child Loop BB6_242 Depth 3
	;; [unrolled: 1-line block ×5, first 2 shown]
                                        ;         Child Loop BB6_123 Depth 4
                                        ;         Child Loop BB6_130 Depth 4
	;; [unrolled: 1-line block ×11, first 2 shown]
                                        ;       Child Loop BB6_261 Depth 3
                                        ;       Child Loop BB6_269 Depth 3
	;; [unrolled: 1-line block ×16, first 2 shown]
	v_readfirstlane_b32 s2, v38
	v_cmp_eq_u32_e64 s[2:3], s2, v38
	v_pk_mov_b32 v[4:5], 0, 0
	s_and_saveexec_b64 s[18:19], s[2:3]
	s_cbranch_execz .LBB6_12
; %bb.7:                                ;   in Loop: Header=BB6_6 Depth=2
	s_waitcnt lgkmcnt(0)
	global_load_dwordx2 v[18:19], v3, s[16:17] offset:24 glc
	s_waitcnt vmcnt(0)
	buffer_invl2
	buffer_wbinvl1_vol
	global_load_dwordx2 v[4:5], v3, s[16:17] offset:40
	global_load_dwordx2 v[8:9], v3, s[16:17]
	s_waitcnt vmcnt(1)
	v_and_b32_e32 v1, v4, v18
	v_and_b32_e32 v2, v5, v19
	v_mul_lo_u32 v2, v2, 24
	v_mul_hi_u32 v4, v1, 24
	v_mul_lo_u32 v1, v1, 24
	v_add_u32_e32 v2, v4, v2
	s_waitcnt vmcnt(0)
	v_add_co_u32_e32 v4, vcc, v8, v1
	v_addc_co_u32_e32 v5, vcc, v9, v2, vcc
	global_load_dwordx2 v[16:17], v[4:5], off glc
	s_waitcnt vmcnt(0)
	global_atomic_cmpswap_x2 v[4:5], v3, v[16:19], s[16:17] offset:24 glc
	s_waitcnt vmcnt(0)
	buffer_invl2
	buffer_wbinvl1_vol
	v_cmp_ne_u64_e32 vcc, v[4:5], v[18:19]
	s_and_saveexec_b64 s[20:21], vcc
	s_cbranch_execz .LBB6_11
; %bb.8:                                ;   in Loop: Header=BB6_6 Depth=2
	s_mov_b64 s[22:23], 0
.LBB6_9:                                ;   Parent Loop BB6_3 Depth=1
                                        ;     Parent Loop BB6_6 Depth=2
                                        ; =>    This Inner Loop Header: Depth=3
	s_sleep 1
	global_load_dwordx2 v[8:9], v3, s[16:17] offset:40
	global_load_dwordx2 v[12:13], v3, s[16:17]
	v_pk_mov_b32 v[18:19], v[4:5], v[4:5] op_sel:[0,1]
	s_waitcnt vmcnt(1)
	v_and_b32_e32 v2, v8, v18
	s_waitcnt vmcnt(0)
	v_mad_u64_u32 v[4:5], s[24:25], v2, 24, v[12:13]
	v_and_b32_e32 v1, v9, v19
	v_mov_b32_e32 v2, v5
	v_mad_u64_u32 v[8:9], s[24:25], v1, 24, v[2:3]
	v_mov_b32_e32 v5, v8
	global_load_dwordx2 v[16:17], v[4:5], off glc
	s_waitcnt vmcnt(0)
	global_atomic_cmpswap_x2 v[4:5], v3, v[16:19], s[16:17] offset:24 glc
	s_waitcnt vmcnt(0)
	buffer_invl2
	buffer_wbinvl1_vol
	v_cmp_eq_u64_e32 vcc, v[4:5], v[18:19]
	s_or_b64 s[22:23], vcc, s[22:23]
	s_andn2_b64 exec, exec, s[22:23]
	s_cbranch_execnz .LBB6_9
; %bb.10:                               ;   in Loop: Header=BB6_6 Depth=2
	s_or_b64 exec, exec, s[22:23]
.LBB6_11:                               ;   in Loop: Header=BB6_6 Depth=2
	s_or_b64 exec, exec, s[20:21]
.LBB6_12:                               ;   in Loop: Header=BB6_6 Depth=2
	s_or_b64 exec, exec, s[18:19]
	s_waitcnt lgkmcnt(0)
	global_load_dwordx2 v[8:9], v3, s[16:17] offset:40
	global_load_dwordx4 v[16:19], v3, s[16:17]
	v_readfirstlane_b32 s18, v4
	v_readfirstlane_b32 s19, v5
	s_mov_b64 s[20:21], exec
	s_waitcnt vmcnt(1)
	v_readfirstlane_b32 s22, v8
	v_readfirstlane_b32 s23, v9
	s_and_b64 s[22:23], s[18:19], s[22:23]
	s_mul_i32 s24, s23, 24
	s_mul_hi_u32 s25, s22, 24
	s_mul_i32 s26, s22, 24
	s_add_i32 s24, s25, s24
	v_mov_b32_e32 v1, s24
	s_waitcnt vmcnt(0)
	v_add_co_u32_e32 v4, vcc, s26, v16
	v_addc_co_u32_e32 v5, vcc, v17, v1, vcc
	s_and_saveexec_b64 s[24:25], s[2:3]
	s_cbranch_execz .LBB6_14
; %bb.13:                               ;   in Loop: Header=BB6_6 Depth=2
	v_pk_mov_b32 v[12:13], s[20:21], s[20:21] op_sel:[0,1]
	global_store_dwordx4 v[4:5], v[12:15], off offset:8
.LBB6_14:                               ;   in Loop: Header=BB6_6 Depth=2
	s_or_b64 exec, exec, s[24:25]
	s_lshl_b64 s[20:21], s[22:23], 12
	v_mov_b32_e32 v1, s21
	v_add_co_u32_e32 v8, vcc, s20, v18
	v_addc_co_u32_e32 v9, vcc, v19, v1, vcc
	v_pk_mov_b32 v[20:21], s[6:7], s[6:7] op_sel:[0,1]
	v_mov_b32_e32 v1, v3
	v_mov_b32_e32 v2, v3
	v_readfirstlane_b32 s20, v8
	v_readfirstlane_b32 s21, v9
	v_pk_mov_b32 v[18:19], s[4:5], s[4:5] op_sel:[0,1]
	s_nop 3
	global_store_dwordx4 v39, v[0:3], s[20:21]
	global_store_dwordx4 v39, v[18:21], s[20:21] offset:16
	global_store_dwordx4 v39, v[18:21], s[20:21] offset:32
	;; [unrolled: 1-line block ×3, first 2 shown]
	s_and_saveexec_b64 s[20:21], s[2:3]
	s_cbranch_execz .LBB6_22
; %bb.15:                               ;   in Loop: Header=BB6_6 Depth=2
	global_load_dwordx2 v[20:21], v3, s[16:17] offset:32 glc
	global_load_dwordx2 v[12:13], v3, s[16:17] offset:40
	v_mov_b32_e32 v18, s18
	v_mov_b32_e32 v19, s19
	s_waitcnt vmcnt(0)
	v_readfirstlane_b32 s22, v12
	v_readfirstlane_b32 s23, v13
	s_and_b64 s[22:23], s[22:23], s[18:19]
	s_mul_i32 s23, s23, 24
	s_mul_hi_u32 s24, s22, 24
	s_mul_i32 s22, s22, 24
	s_add_i32 s23, s24, s23
	v_mov_b32_e32 v1, s23
	v_add_co_u32_e32 v12, vcc, s22, v16
	v_addc_co_u32_e32 v13, vcc, v17, v1, vcc
	global_store_dwordx2 v[12:13], v[20:21], off
	buffer_wbl2
	s_waitcnt vmcnt(0)
	global_atomic_cmpswap_x2 v[18:19], v3, v[18:21], s[16:17] offset:32 glc
	s_waitcnt vmcnt(0)
	v_cmp_ne_u64_e32 vcc, v[18:19], v[20:21]
	s_and_saveexec_b64 s[22:23], vcc
	s_cbranch_execz .LBB6_18
; %bb.16:                               ;   in Loop: Header=BB6_6 Depth=2
	s_mov_b64 s[24:25], 0
.LBB6_17:                               ;   Parent Loop BB6_3 Depth=1
                                        ;     Parent Loop BB6_6 Depth=2
                                        ; =>    This Inner Loop Header: Depth=3
	s_sleep 1
	global_store_dwordx2 v[12:13], v[18:19], off
	v_mov_b32_e32 v16, s18
	v_mov_b32_e32 v17, s19
	buffer_wbl2
	s_waitcnt vmcnt(0)
	global_atomic_cmpswap_x2 v[16:17], v3, v[16:19], s[16:17] offset:32 glc
	s_waitcnt vmcnt(0)
	v_cmp_eq_u64_e32 vcc, v[16:17], v[18:19]
	s_or_b64 s[24:25], vcc, s[24:25]
	v_pk_mov_b32 v[18:19], v[16:17], v[16:17] op_sel:[0,1]
	s_andn2_b64 exec, exec, s[24:25]
	s_cbranch_execnz .LBB6_17
.LBB6_18:                               ;   in Loop: Header=BB6_6 Depth=2
	s_or_b64 exec, exec, s[22:23]
	global_load_dwordx2 v[12:13], v3, s[16:17] offset:16
	s_mov_b64 s[24:25], exec
	v_mbcnt_lo_u32_b32 v1, s24, 0
	v_mbcnt_hi_u32_b32 v1, s25, v1
	v_cmp_eq_u32_e32 vcc, 0, v1
	s_and_saveexec_b64 s[22:23], vcc
	s_cbranch_execz .LBB6_20
; %bb.19:                               ;   in Loop: Header=BB6_6 Depth=2
	s_bcnt1_i32_b64 s24, s[24:25]
	v_mov_b32_e32 v2, s24
	buffer_wbl2
	s_waitcnt vmcnt(0)
	global_atomic_add_x2 v[12:13], v[2:3], off offset:8
.LBB6_20:                               ;   in Loop: Header=BB6_6 Depth=2
	s_or_b64 exec, exec, s[22:23]
	s_waitcnt vmcnt(0)
	global_load_dwordx2 v[16:17], v[12:13], off offset:16
	s_waitcnt vmcnt(0)
	v_cmp_eq_u64_e32 vcc, 0, v[16:17]
	s_cbranch_vccnz .LBB6_22
; %bb.21:                               ;   in Loop: Header=BB6_6 Depth=2
	global_load_dword v2, v[12:13], off offset:24
	s_waitcnt vmcnt(0)
	v_and_b32_e32 v1, 0xffffff, v2
	v_readfirstlane_b32 m0, v1
	buffer_wbl2
	global_store_dwordx2 v[16:17], v[2:3], off
	s_sendmsg sendmsg(MSG_INTERRUPT)
.LBB6_22:                               ;   in Loop: Header=BB6_6 Depth=2
	s_or_b64 exec, exec, s[20:21]
	v_add_co_u32_e32 v8, vcc, v8, v39
	v_addc_co_u32_e32 v9, vcc, 0, v9, vcc
	s_branch .LBB6_26
.LBB6_23:                               ;   in Loop: Header=BB6_26 Depth=3
	s_or_b64 exec, exec, s[20:21]
	v_readfirstlane_b32 s20, v1
	s_cmp_eq_u32 s20, 0
	s_cbranch_scc1 .LBB6_25
; %bb.24:                               ;   in Loop: Header=BB6_26 Depth=3
	s_sleep 1
	s_cbranch_execnz .LBB6_26
	s_branch .LBB6_28
.LBB6_25:                               ;   in Loop: Header=BB6_6 Depth=2
	s_branch .LBB6_28
.LBB6_26:                               ;   Parent Loop BB6_3 Depth=1
                                        ;     Parent Loop BB6_6 Depth=2
                                        ; =>    This Inner Loop Header: Depth=3
	v_mov_b32_e32 v1, 1
	s_and_saveexec_b64 s[20:21], s[2:3]
	s_cbranch_execz .LBB6_23
; %bb.27:                               ;   in Loop: Header=BB6_26 Depth=3
	global_load_dword v1, v[4:5], off offset:20 glc
	s_waitcnt vmcnt(0)
	buffer_invl2
	buffer_wbinvl1_vol
	v_and_b32_e32 v1, 1, v1
	s_branch .LBB6_23
.LBB6_28:                               ;   in Loop: Header=BB6_6 Depth=2
	global_load_dwordx2 v[20:21], v[8:9], off
	s_and_saveexec_b64 s[20:21], s[2:3]
	s_cbranch_execz .LBB6_32
; %bb.29:                               ;   in Loop: Header=BB6_6 Depth=2
	global_load_dwordx2 v[4:5], v3, s[16:17] offset:40
	global_load_dwordx2 v[8:9], v3, s[16:17] offset:24 glc
	global_load_dwordx2 v[12:13], v3, s[16:17]
	v_mov_b32_e32 v1, s19
	s_waitcnt vmcnt(2)
	v_add_co_u32_e32 v2, vcc, 1, v4
	v_addc_co_u32_e32 v19, vcc, 0, v5, vcc
	v_add_co_u32_e32 v16, vcc, s18, v2
	v_addc_co_u32_e32 v17, vcc, v19, v1, vcc
	v_cmp_eq_u64_e32 vcc, 0, v[16:17]
	v_cndmask_b32_e32 v17, v17, v19, vcc
	v_cndmask_b32_e32 v16, v16, v2, vcc
	v_and_b32_e32 v1, v17, v5
	v_and_b32_e32 v2, v16, v4
	v_mul_lo_u32 v1, v1, 24
	v_mul_hi_u32 v4, v2, 24
	v_mul_lo_u32 v2, v2, 24
	v_add_u32_e32 v1, v4, v1
	s_waitcnt vmcnt(0)
	v_add_co_u32_e32 v4, vcc, v12, v2
	v_addc_co_u32_e32 v5, vcc, v13, v1, vcc
	v_mov_b32_e32 v18, v8
	global_store_dwordx2 v[4:5], v[8:9], off
	v_mov_b32_e32 v19, v9
	buffer_wbl2
	s_waitcnt vmcnt(0)
	global_atomic_cmpswap_x2 v[18:19], v3, v[16:19], s[16:17] offset:24 glc
	s_waitcnt vmcnt(0)
	v_cmp_ne_u64_e32 vcc, v[18:19], v[8:9]
	s_and_b64 exec, exec, vcc
	s_cbranch_execz .LBB6_32
; %bb.30:                               ;   in Loop: Header=BB6_6 Depth=2
	s_mov_b64 s[2:3], 0
.LBB6_31:                               ;   Parent Loop BB6_3 Depth=1
                                        ;     Parent Loop BB6_6 Depth=2
                                        ; =>    This Inner Loop Header: Depth=3
	s_sleep 1
	global_store_dwordx2 v[4:5], v[18:19], off
	buffer_wbl2
	s_waitcnt vmcnt(0)
	global_atomic_cmpswap_x2 v[8:9], v3, v[16:19], s[16:17] offset:24 glc
	s_waitcnt vmcnt(0)
	v_cmp_eq_u64_e32 vcc, v[8:9], v[18:19]
	s_or_b64 s[2:3], vcc, s[2:3]
	v_pk_mov_b32 v[18:19], v[8:9], v[8:9] op_sel:[0,1]
	s_andn2_b64 exec, exec, s[2:3]
	s_cbranch_execnz .LBB6_31
.LBB6_32:                               ;   in Loop: Header=BB6_6 Depth=2
	s_or_b64 exec, exec, s[20:21]
	s_and_b64 vcc, exec, s[12:13]
	s_cbranch_vccz .LBB6_202
; %bb.33:                               ;   in Loop: Header=BB6_6 Depth=2
	s_waitcnt vmcnt(0)
	v_and_b32_e32 v4, 2, v20
	v_and_b32_e32 v16, -3, v20
	v_mov_b32_e32 v17, v21
	s_mov_b64 s[20:21], 13
	s_getpc_b64 s[18:19]
	s_add_u32 s18, s18, .str.9@rel32@lo+4
	s_addc_u32 s19, s19, .str.9@rel32@hi+12
	s_branch .LBB6_35
.LBB6_34:                               ;   in Loop: Header=BB6_35 Depth=3
	s_or_b64 exec, exec, s[26:27]
	s_sub_u32 s20, s20, s22
	s_subb_u32 s21, s21, s23
	s_add_u32 s18, s18, s22
	s_addc_u32 s19, s19, s23
	s_cmp_lg_u64 s[20:21], 0
	s_cbranch_scc0 .LBB6_116
.LBB6_35:                               ;   Parent Loop BB6_3 Depth=1
                                        ;     Parent Loop BB6_6 Depth=2
                                        ; =>    This Loop Header: Depth=3
                                        ;         Child Loop BB6_38 Depth 4
                                        ;         Child Loop BB6_45 Depth 4
	;; [unrolled: 1-line block ×11, first 2 shown]
	v_cmp_lt_u64_e64 s[2:3], s[20:21], 56
	s_and_b64 s[2:3], s[2:3], exec
	v_cmp_gt_u64_e64 s[2:3], s[20:21], 7
	s_cselect_b32 s23, s21, 0
	s_cselect_b32 s22, s20, 56
	s_and_b64 vcc, exec, s[2:3]
	s_cbranch_vccnz .LBB6_40
; %bb.36:                               ;   in Loop: Header=BB6_35 Depth=3
	s_mov_b64 s[2:3], 0
	s_cmp_eq_u64 s[20:21], 0
	s_waitcnt vmcnt(0)
	v_pk_mov_b32 v[18:19], 0, 0
	s_cbranch_scc1 .LBB6_39
; %bb.37:                               ;   in Loop: Header=BB6_35 Depth=3
	s_lshl_b64 s[24:25], s[22:23], 3
	s_mov_b64 s[26:27], 0
	v_pk_mov_b32 v[18:19], 0, 0
	s_mov_b64 s[28:29], s[18:19]
.LBB6_38:                               ;   Parent Loop BB6_3 Depth=1
                                        ;     Parent Loop BB6_6 Depth=2
                                        ;       Parent Loop BB6_35 Depth=3
                                        ; =>      This Inner Loop Header: Depth=4
	global_load_ubyte v1, v3, s[28:29]
	s_waitcnt vmcnt(0)
	v_and_b32_e32 v2, 0xffff, v1
	v_lshlrev_b64 v[8:9], s26, v[2:3]
	s_add_u32 s26, s26, 8
	s_addc_u32 s27, s27, 0
	s_add_u32 s28, s28, 1
	s_addc_u32 s29, s29, 0
	v_or_b32_e32 v18, v8, v18
	s_cmp_lg_u32 s24, s26
	v_or_b32_e32 v19, v9, v19
	s_cbranch_scc1 .LBB6_38
.LBB6_39:                               ;   in Loop: Header=BB6_35 Depth=3
	s_mov_b32 s28, 0
	s_andn2_b64 vcc, exec, s[2:3]
	s_mov_b64 s[2:3], s[18:19]
	s_cbranch_vccz .LBB6_41
	s_branch .LBB6_42
.LBB6_40:                               ;   in Loop: Header=BB6_35 Depth=3
                                        ; implicit-def: $vgpr18_vgpr19
                                        ; implicit-def: $sgpr28
	s_mov_b64 s[2:3], s[18:19]
.LBB6_41:                               ;   in Loop: Header=BB6_35 Depth=3
	global_load_dwordx2 v[18:19], v3, s[18:19]
	s_add_i32 s28, s22, -8
	s_add_u32 s2, s18, 8
	s_addc_u32 s3, s19, 0
.LBB6_42:                               ;   in Loop: Header=BB6_35 Depth=3
	s_cmp_gt_u32 s28, 7
	s_cbranch_scc1 .LBB6_46
; %bb.43:                               ;   in Loop: Header=BB6_35 Depth=3
	s_cmp_eq_u32 s28, 0
	s_cbranch_scc1 .LBB6_47
; %bb.44:                               ;   in Loop: Header=BB6_35 Depth=3
	s_mov_b64 s[24:25], 0
	v_pk_mov_b32 v[22:23], 0, 0
	s_mov_b64 s[26:27], 0
.LBB6_45:                               ;   Parent Loop BB6_3 Depth=1
                                        ;     Parent Loop BB6_6 Depth=2
                                        ;       Parent Loop BB6_35 Depth=3
                                        ; =>      This Inner Loop Header: Depth=4
	s_add_u32 s30, s2, s26
	s_addc_u32 s31, s3, s27
	global_load_ubyte v1, v3, s[30:31]
	s_add_u32 s26, s26, 1
	s_addc_u32 s27, s27, 0
	s_waitcnt vmcnt(0)
	v_and_b32_e32 v2, 0xffff, v1
	v_lshlrev_b64 v[8:9], s24, v[2:3]
	s_add_u32 s24, s24, 8
	s_addc_u32 s25, s25, 0
	v_or_b32_e32 v22, v8, v22
	s_cmp_lg_u32 s28, s26
	v_or_b32_e32 v23, v9, v23
	s_cbranch_scc1 .LBB6_45
	s_branch .LBB6_48
.LBB6_46:                               ;   in Loop: Header=BB6_35 Depth=3
                                        ; implicit-def: $vgpr22_vgpr23
                                        ; implicit-def: $sgpr29
	s_branch .LBB6_49
.LBB6_47:                               ;   in Loop: Header=BB6_35 Depth=3
	v_pk_mov_b32 v[22:23], 0, 0
.LBB6_48:                               ;   in Loop: Header=BB6_35 Depth=3
	s_mov_b32 s29, 0
	s_cbranch_execnz .LBB6_50
.LBB6_49:                               ;   in Loop: Header=BB6_35 Depth=3
	global_load_dwordx2 v[22:23], v3, s[2:3]
	s_add_i32 s29, s28, -8
	s_add_u32 s2, s2, 8
	s_addc_u32 s3, s3, 0
.LBB6_50:                               ;   in Loop: Header=BB6_35 Depth=3
	s_cmp_gt_u32 s29, 7
	s_cbranch_scc1 .LBB6_54
; %bb.51:                               ;   in Loop: Header=BB6_35 Depth=3
	s_cmp_eq_u32 s29, 0
	s_cbranch_scc1 .LBB6_55
; %bb.52:                               ;   in Loop: Header=BB6_35 Depth=3
	s_mov_b64 s[24:25], 0
	v_pk_mov_b32 v[24:25], 0, 0
	s_mov_b64 s[26:27], 0
.LBB6_53:                               ;   Parent Loop BB6_3 Depth=1
                                        ;     Parent Loop BB6_6 Depth=2
                                        ;       Parent Loop BB6_35 Depth=3
                                        ; =>      This Inner Loop Header: Depth=4
	s_add_u32 s30, s2, s26
	s_addc_u32 s31, s3, s27
	global_load_ubyte v1, v3, s[30:31]
	s_add_u32 s26, s26, 1
	s_addc_u32 s27, s27, 0
	s_waitcnt vmcnt(0)
	v_and_b32_e32 v2, 0xffff, v1
	v_lshlrev_b64 v[8:9], s24, v[2:3]
	s_add_u32 s24, s24, 8
	s_addc_u32 s25, s25, 0
	v_or_b32_e32 v24, v8, v24
	s_cmp_lg_u32 s29, s26
	v_or_b32_e32 v25, v9, v25
	s_cbranch_scc1 .LBB6_53
	s_branch .LBB6_56
.LBB6_54:                               ;   in Loop: Header=BB6_35 Depth=3
                                        ; implicit-def: $sgpr28
	s_branch .LBB6_57
.LBB6_55:                               ;   in Loop: Header=BB6_35 Depth=3
	v_pk_mov_b32 v[24:25], 0, 0
.LBB6_56:                               ;   in Loop: Header=BB6_35 Depth=3
	s_mov_b32 s28, 0
	s_cbranch_execnz .LBB6_58
.LBB6_57:                               ;   in Loop: Header=BB6_35 Depth=3
	global_load_dwordx2 v[24:25], v3, s[2:3]
	s_add_i32 s28, s29, -8
	s_add_u32 s2, s2, 8
	s_addc_u32 s3, s3, 0
.LBB6_58:                               ;   in Loop: Header=BB6_35 Depth=3
	s_cmp_gt_u32 s28, 7
	s_cbranch_scc1 .LBB6_62
; %bb.59:                               ;   in Loop: Header=BB6_35 Depth=3
	s_cmp_eq_u32 s28, 0
	s_cbranch_scc1 .LBB6_63
; %bb.60:                               ;   in Loop: Header=BB6_35 Depth=3
	s_mov_b64 s[24:25], 0
	v_pk_mov_b32 v[26:27], 0, 0
	s_mov_b64 s[26:27], 0
.LBB6_61:                               ;   Parent Loop BB6_3 Depth=1
                                        ;     Parent Loop BB6_6 Depth=2
                                        ;       Parent Loop BB6_35 Depth=3
                                        ; =>      This Inner Loop Header: Depth=4
	s_add_u32 s30, s2, s26
	s_addc_u32 s31, s3, s27
	global_load_ubyte v1, v3, s[30:31]
	s_add_u32 s26, s26, 1
	s_addc_u32 s27, s27, 0
	s_waitcnt vmcnt(0)
	v_and_b32_e32 v2, 0xffff, v1
	v_lshlrev_b64 v[8:9], s24, v[2:3]
	s_add_u32 s24, s24, 8
	s_addc_u32 s25, s25, 0
	v_or_b32_e32 v26, v8, v26
	s_cmp_lg_u32 s28, s26
	v_or_b32_e32 v27, v9, v27
	s_cbranch_scc1 .LBB6_61
	s_branch .LBB6_64
.LBB6_62:                               ;   in Loop: Header=BB6_35 Depth=3
                                        ; implicit-def: $vgpr26_vgpr27
                                        ; implicit-def: $sgpr29
	s_branch .LBB6_65
.LBB6_63:                               ;   in Loop: Header=BB6_35 Depth=3
	v_pk_mov_b32 v[26:27], 0, 0
.LBB6_64:                               ;   in Loop: Header=BB6_35 Depth=3
	s_mov_b32 s29, 0
	s_cbranch_execnz .LBB6_66
.LBB6_65:                               ;   in Loop: Header=BB6_35 Depth=3
	global_load_dwordx2 v[26:27], v3, s[2:3]
	s_add_i32 s29, s28, -8
	s_add_u32 s2, s2, 8
	s_addc_u32 s3, s3, 0
.LBB6_66:                               ;   in Loop: Header=BB6_35 Depth=3
	s_cmp_gt_u32 s29, 7
	s_cbranch_scc1 .LBB6_70
; %bb.67:                               ;   in Loop: Header=BB6_35 Depth=3
	s_cmp_eq_u32 s29, 0
	s_cbranch_scc1 .LBB6_71
; %bb.68:                               ;   in Loop: Header=BB6_35 Depth=3
	s_mov_b64 s[24:25], 0
	v_pk_mov_b32 v[28:29], 0, 0
	s_mov_b64 s[26:27], 0
.LBB6_69:                               ;   Parent Loop BB6_3 Depth=1
                                        ;     Parent Loop BB6_6 Depth=2
                                        ;       Parent Loop BB6_35 Depth=3
                                        ; =>      This Inner Loop Header: Depth=4
	s_add_u32 s30, s2, s26
	s_addc_u32 s31, s3, s27
	global_load_ubyte v1, v3, s[30:31]
	s_add_u32 s26, s26, 1
	s_addc_u32 s27, s27, 0
	s_waitcnt vmcnt(0)
	v_and_b32_e32 v2, 0xffff, v1
	v_lshlrev_b64 v[8:9], s24, v[2:3]
	s_add_u32 s24, s24, 8
	s_addc_u32 s25, s25, 0
	v_or_b32_e32 v28, v8, v28
	s_cmp_lg_u32 s29, s26
	v_or_b32_e32 v29, v9, v29
	s_cbranch_scc1 .LBB6_69
	s_branch .LBB6_72
.LBB6_70:                               ;   in Loop: Header=BB6_35 Depth=3
                                        ; implicit-def: $sgpr28
	s_branch .LBB6_73
.LBB6_71:                               ;   in Loop: Header=BB6_35 Depth=3
	v_pk_mov_b32 v[28:29], 0, 0
.LBB6_72:                               ;   in Loop: Header=BB6_35 Depth=3
	s_mov_b32 s28, 0
	s_cbranch_execnz .LBB6_74
.LBB6_73:                               ;   in Loop: Header=BB6_35 Depth=3
	global_load_dwordx2 v[28:29], v3, s[2:3]
	s_add_i32 s28, s29, -8
	s_add_u32 s2, s2, 8
	s_addc_u32 s3, s3, 0
.LBB6_74:                               ;   in Loop: Header=BB6_35 Depth=3
	s_cmp_gt_u32 s28, 7
	s_cbranch_scc1 .LBB6_78
; %bb.75:                               ;   in Loop: Header=BB6_35 Depth=3
	s_cmp_eq_u32 s28, 0
	s_cbranch_scc1 .LBB6_79
; %bb.76:                               ;   in Loop: Header=BB6_35 Depth=3
	s_mov_b64 s[24:25], 0
	v_pk_mov_b32 v[30:31], 0, 0
	s_mov_b64 s[26:27], 0
.LBB6_77:                               ;   Parent Loop BB6_3 Depth=1
                                        ;     Parent Loop BB6_6 Depth=2
                                        ;       Parent Loop BB6_35 Depth=3
                                        ; =>      This Inner Loop Header: Depth=4
	s_add_u32 s30, s2, s26
	s_addc_u32 s31, s3, s27
	global_load_ubyte v1, v3, s[30:31]
	s_add_u32 s26, s26, 1
	s_addc_u32 s27, s27, 0
	s_waitcnt vmcnt(0)
	v_and_b32_e32 v2, 0xffff, v1
	v_lshlrev_b64 v[8:9], s24, v[2:3]
	s_add_u32 s24, s24, 8
	s_addc_u32 s25, s25, 0
	v_or_b32_e32 v30, v8, v30
	s_cmp_lg_u32 s28, s26
	v_or_b32_e32 v31, v9, v31
	s_cbranch_scc1 .LBB6_77
	s_branch .LBB6_80
.LBB6_78:                               ;   in Loop: Header=BB6_35 Depth=3
                                        ; implicit-def: $vgpr30_vgpr31
                                        ; implicit-def: $sgpr29
	s_branch .LBB6_81
.LBB6_79:                               ;   in Loop: Header=BB6_35 Depth=3
	v_pk_mov_b32 v[30:31], 0, 0
.LBB6_80:                               ;   in Loop: Header=BB6_35 Depth=3
	s_mov_b32 s29, 0
	s_cbranch_execnz .LBB6_82
.LBB6_81:                               ;   in Loop: Header=BB6_35 Depth=3
	global_load_dwordx2 v[30:31], v3, s[2:3]
	s_add_i32 s29, s28, -8
	s_add_u32 s2, s2, 8
	s_addc_u32 s3, s3, 0
.LBB6_82:                               ;   in Loop: Header=BB6_35 Depth=3
	s_cmp_gt_u32 s29, 7
	s_cbranch_scc1 .LBB6_86
; %bb.83:                               ;   in Loop: Header=BB6_35 Depth=3
	s_cmp_eq_u32 s29, 0
	s_cbranch_scc1 .LBB6_87
; %bb.84:                               ;   in Loop: Header=BB6_35 Depth=3
	s_mov_b64 s[24:25], 0
	v_pk_mov_b32 v[32:33], 0, 0
	s_mov_b64 s[26:27], s[2:3]
.LBB6_85:                               ;   Parent Loop BB6_3 Depth=1
                                        ;     Parent Loop BB6_6 Depth=2
                                        ;       Parent Loop BB6_35 Depth=3
                                        ; =>      This Inner Loop Header: Depth=4
	global_load_ubyte v1, v3, s[26:27]
	s_add_i32 s29, s29, -1
	s_waitcnt vmcnt(0)
	v_and_b32_e32 v2, 0xffff, v1
	v_lshlrev_b64 v[8:9], s24, v[2:3]
	s_add_u32 s24, s24, 8
	s_addc_u32 s25, s25, 0
	s_add_u32 s26, s26, 1
	s_addc_u32 s27, s27, 0
	v_or_b32_e32 v32, v8, v32
	s_cmp_lg_u32 s29, 0
	v_or_b32_e32 v33, v9, v33
	s_cbranch_scc1 .LBB6_85
	s_branch .LBB6_88
.LBB6_86:                               ;   in Loop: Header=BB6_35 Depth=3
	s_branch .LBB6_89
.LBB6_87:                               ;   in Loop: Header=BB6_35 Depth=3
	v_pk_mov_b32 v[32:33], 0, 0
.LBB6_88:                               ;   in Loop: Header=BB6_35 Depth=3
	s_cbranch_execnz .LBB6_90
.LBB6_89:                               ;   in Loop: Header=BB6_35 Depth=3
	global_load_dwordx2 v[32:33], v3, s[2:3]
.LBB6_90:                               ;   in Loop: Header=BB6_35 Depth=3
	v_readfirstlane_b32 s2, v38
	v_cmp_eq_u32_e64 s[2:3], s2, v38
	v_pk_mov_b32 v[8:9], 0, 0
	s_and_saveexec_b64 s[24:25], s[2:3]
	s_cbranch_execz .LBB6_96
; %bb.91:                               ;   in Loop: Header=BB6_35 Depth=3
	global_load_dwordx2 v[36:37], v3, s[16:17] offset:24 glc
	s_waitcnt vmcnt(0)
	buffer_invl2
	buffer_wbinvl1_vol
	global_load_dwordx2 v[8:9], v3, s[16:17] offset:40
	global_load_dwordx2 v[12:13], v3, s[16:17]
	s_waitcnt vmcnt(1)
	v_and_b32_e32 v1, v8, v36
	v_and_b32_e32 v2, v9, v37
	v_mul_lo_u32 v2, v2, 24
	v_mul_hi_u32 v5, v1, 24
	v_mul_lo_u32 v1, v1, 24
	v_add_u32_e32 v2, v5, v2
	s_waitcnt vmcnt(0)
	v_add_co_u32_e32 v8, vcc, v12, v1
	v_addc_co_u32_e32 v9, vcc, v13, v2, vcc
	global_load_dwordx2 v[34:35], v[8:9], off glc
	s_waitcnt vmcnt(0)
	global_atomic_cmpswap_x2 v[8:9], v3, v[34:37], s[16:17] offset:24 glc
	s_waitcnt vmcnt(0)
	buffer_invl2
	buffer_wbinvl1_vol
	v_cmp_ne_u64_e32 vcc, v[8:9], v[36:37]
	s_and_saveexec_b64 s[26:27], vcc
	s_cbranch_execz .LBB6_95
; %bb.92:                               ;   in Loop: Header=BB6_35 Depth=3
	s_mov_b64 s[28:29], 0
.LBB6_93:                               ;   Parent Loop BB6_3 Depth=1
                                        ;     Parent Loop BB6_6 Depth=2
                                        ;       Parent Loop BB6_35 Depth=3
                                        ; =>      This Inner Loop Header: Depth=4
	s_sleep 1
	global_load_dwordx2 v[12:13], v3, s[16:17] offset:40
	global_load_dwordx2 v[34:35], v3, s[16:17]
	v_pk_mov_b32 v[36:37], v[8:9], v[8:9] op_sel:[0,1]
	s_waitcnt vmcnt(1)
	v_and_b32_e32 v2, v12, v36
	s_waitcnt vmcnt(0)
	v_mad_u64_u32 v[8:9], s[30:31], v2, 24, v[34:35]
	v_and_b32_e32 v1, v13, v37
	v_mov_b32_e32 v2, v9
	v_mad_u64_u32 v[12:13], s[30:31], v1, 24, v[2:3]
	v_mov_b32_e32 v9, v12
	global_load_dwordx2 v[34:35], v[8:9], off glc
	s_waitcnt vmcnt(0)
	global_atomic_cmpswap_x2 v[8:9], v3, v[34:37], s[16:17] offset:24 glc
	s_waitcnt vmcnt(0)
	buffer_invl2
	buffer_wbinvl1_vol
	v_cmp_eq_u64_e32 vcc, v[8:9], v[36:37]
	s_or_b64 s[28:29], vcc, s[28:29]
	s_andn2_b64 exec, exec, s[28:29]
	s_cbranch_execnz .LBB6_93
; %bb.94:                               ;   in Loop: Header=BB6_35 Depth=3
	s_or_b64 exec, exec, s[28:29]
.LBB6_95:                               ;   in Loop: Header=BB6_35 Depth=3
	s_or_b64 exec, exec, s[26:27]
.LBB6_96:                               ;   in Loop: Header=BB6_35 Depth=3
	s_or_b64 exec, exec, s[24:25]
	global_load_dwordx2 v[12:13], v3, s[16:17] offset:40
	global_load_dwordx4 v[34:37], v3, s[16:17]
	v_readfirstlane_b32 s24, v8
	v_readfirstlane_b32 s25, v9
	s_mov_b64 s[26:27], exec
	s_waitcnt vmcnt(1)
	v_readfirstlane_b32 s28, v12
	v_readfirstlane_b32 s29, v13
	s_and_b64 s[28:29], s[24:25], s[28:29]
	s_mul_i32 s30, s29, 24
	s_mul_hi_u32 s31, s28, 24
	s_mul_i32 s38, s28, 24
	s_add_i32 s30, s31, s30
	v_mov_b32_e32 v1, s30
	s_waitcnt vmcnt(0)
	v_add_co_u32_e32 v8, vcc, s38, v34
	v_addc_co_u32_e32 v9, vcc, v35, v1, vcc
	s_and_saveexec_b64 s[30:31], s[2:3]
	s_cbranch_execz .LBB6_98
; %bb.97:                               ;   in Loop: Header=BB6_35 Depth=3
	v_pk_mov_b32 v[12:13], s[26:27], s[26:27] op_sel:[0,1]
	global_store_dwordx4 v[8:9], v[12:15], off offset:8
.LBB6_98:                               ;   in Loop: Header=BB6_35 Depth=3
	s_or_b64 exec, exec, s[30:31]
	s_lshl_b64 s[26:27], s[28:29], 12
	v_mov_b32_e32 v1, s27
	v_add_co_u32_e32 v12, vcc, s26, v36
	v_addc_co_u32_e32 v1, vcc, v37, v1, vcc
	v_or_b32_e32 v2, 0, v17
	v_or_b32_e32 v5, v16, v4
	v_cmp_gt_u64_e64 vcc, s[20:21], 56
	s_lshl_b32 s26, s22, 2
	v_cndmask_b32_e32 v17, v2, v17, vcc
	v_cndmask_b32_e32 v2, v5, v16, vcc
	s_add_i32 s26, s26, 28
	s_and_b32 s26, s26, 0x1e0
	v_and_b32_e32 v2, 0xffffff1f, v2
	v_or_b32_e32 v16, s26, v2
	v_readfirstlane_b32 s26, v12
	v_readfirstlane_b32 s27, v1
	s_nop 4
	global_store_dwordx4 v39, v[16:19], s[26:27]
	global_store_dwordx4 v39, v[22:25], s[26:27] offset:16
	global_store_dwordx4 v39, v[26:29], s[26:27] offset:32
	global_store_dwordx4 v39, v[30:33], s[26:27] offset:48
	s_and_saveexec_b64 s[26:27], s[2:3]
	s_cbranch_execz .LBB6_106
; %bb.99:                               ;   in Loop: Header=BB6_35 Depth=3
	global_load_dwordx2 v[26:27], v3, s[16:17] offset:32 glc
	global_load_dwordx2 v[16:17], v3, s[16:17] offset:40
	v_mov_b32_e32 v24, s24
	v_mov_b32_e32 v25, s25
	s_waitcnt vmcnt(0)
	v_readfirstlane_b32 s28, v16
	v_readfirstlane_b32 s29, v17
	s_and_b64 s[28:29], s[28:29], s[24:25]
	s_mul_i32 s29, s29, 24
	s_mul_hi_u32 s30, s28, 24
	s_mul_i32 s28, s28, 24
	s_add_i32 s29, s30, s29
	v_mov_b32_e32 v2, s29
	v_add_co_u32_e32 v22, vcc, s28, v34
	v_addc_co_u32_e32 v23, vcc, v35, v2, vcc
	global_store_dwordx2 v[22:23], v[26:27], off
	buffer_wbl2
	s_waitcnt vmcnt(0)
	global_atomic_cmpswap_x2 v[18:19], v3, v[24:27], s[16:17] offset:32 glc
	s_waitcnt vmcnt(0)
	v_cmp_ne_u64_e32 vcc, v[18:19], v[26:27]
	s_and_saveexec_b64 s[28:29], vcc
	s_cbranch_execz .LBB6_102
; %bb.100:                              ;   in Loop: Header=BB6_35 Depth=3
	s_mov_b64 s[30:31], 0
.LBB6_101:                              ;   Parent Loop BB6_3 Depth=1
                                        ;     Parent Loop BB6_6 Depth=2
                                        ;       Parent Loop BB6_35 Depth=3
                                        ; =>      This Inner Loop Header: Depth=4
	s_sleep 1
	global_store_dwordx2 v[22:23], v[18:19], off
	v_mov_b32_e32 v16, s24
	v_mov_b32_e32 v17, s25
	buffer_wbl2
	s_waitcnt vmcnt(0)
	global_atomic_cmpswap_x2 v[16:17], v3, v[16:19], s[16:17] offset:32 glc
	s_waitcnt vmcnt(0)
	v_cmp_eq_u64_e32 vcc, v[16:17], v[18:19]
	s_or_b64 s[30:31], vcc, s[30:31]
	v_pk_mov_b32 v[18:19], v[16:17], v[16:17] op_sel:[0,1]
	s_andn2_b64 exec, exec, s[30:31]
	s_cbranch_execnz .LBB6_101
.LBB6_102:                              ;   in Loop: Header=BB6_35 Depth=3
	s_or_b64 exec, exec, s[28:29]
	global_load_dwordx2 v[16:17], v3, s[16:17] offset:16
	s_mov_b64 s[30:31], exec
	v_mbcnt_lo_u32_b32 v2, s30, 0
	v_mbcnt_hi_u32_b32 v2, s31, v2
	v_cmp_eq_u32_e32 vcc, 0, v2
	s_and_saveexec_b64 s[28:29], vcc
	s_cbranch_execz .LBB6_104
; %bb.103:                              ;   in Loop: Header=BB6_35 Depth=3
	s_bcnt1_i32_b64 s30, s[30:31]
	v_mov_b32_e32 v2, s30
	buffer_wbl2
	s_waitcnt vmcnt(0)
	global_atomic_add_x2 v[16:17], v[2:3], off offset:8
.LBB6_104:                              ;   in Loop: Header=BB6_35 Depth=3
	s_or_b64 exec, exec, s[28:29]
	s_waitcnt vmcnt(0)
	global_load_dwordx2 v[18:19], v[16:17], off offset:16
	s_waitcnt vmcnt(0)
	v_cmp_eq_u64_e32 vcc, 0, v[18:19]
	s_cbranch_vccnz .LBB6_106
; %bb.105:                              ;   in Loop: Header=BB6_35 Depth=3
	global_load_dword v2, v[16:17], off offset:24
	buffer_wbl2
	s_waitcnt vmcnt(0)
	global_store_dwordx2 v[18:19], v[2:3], off
	v_and_b32_e32 v2, 0xffffff, v2
	v_readfirstlane_b32 m0, v2
	s_sendmsg sendmsg(MSG_INTERRUPT)
.LBB6_106:                              ;   in Loop: Header=BB6_35 Depth=3
	s_or_b64 exec, exec, s[26:27]
	v_add_co_u32_e32 v12, vcc, v12, v39
	v_addc_co_u32_e32 v13, vcc, 0, v1, vcc
	s_branch .LBB6_110
.LBB6_107:                              ;   in Loop: Header=BB6_110 Depth=4
	s_or_b64 exec, exec, s[26:27]
	v_readfirstlane_b32 s26, v1
	s_cmp_eq_u32 s26, 0
	s_cbranch_scc1 .LBB6_109
; %bb.108:                              ;   in Loop: Header=BB6_110 Depth=4
	s_sleep 1
	s_cbranch_execnz .LBB6_110
	s_branch .LBB6_112
.LBB6_109:                              ;   in Loop: Header=BB6_35 Depth=3
	s_branch .LBB6_112
.LBB6_110:                              ;   Parent Loop BB6_3 Depth=1
                                        ;     Parent Loop BB6_6 Depth=2
                                        ;       Parent Loop BB6_35 Depth=3
                                        ; =>      This Inner Loop Header: Depth=4
	v_mov_b32_e32 v1, 1
	s_and_saveexec_b64 s[26:27], s[2:3]
	s_cbranch_execz .LBB6_107
; %bb.111:                              ;   in Loop: Header=BB6_110 Depth=4
	global_load_dword v1, v[8:9], off offset:20 glc
	s_waitcnt vmcnt(0)
	buffer_invl2
	buffer_wbinvl1_vol
	v_and_b32_e32 v1, 1, v1
	s_branch .LBB6_107
.LBB6_112:                              ;   in Loop: Header=BB6_35 Depth=3
	global_load_dwordx4 v[16:19], v[12:13], off
	s_and_saveexec_b64 s[26:27], s[2:3]
	s_cbranch_execz .LBB6_34
; %bb.113:                              ;   in Loop: Header=BB6_35 Depth=3
	global_load_dwordx2 v[8:9], v3, s[16:17] offset:40
	global_load_dwordx2 v[12:13], v3, s[16:17] offset:24 glc
	global_load_dwordx2 v[18:19], v3, s[16:17]
	v_mov_b32_e32 v1, s25
	s_waitcnt vmcnt(2)
	v_add_co_u32_e32 v2, vcc, 1, v8
	v_addc_co_u32_e32 v5, vcc, 0, v9, vcc
	v_add_co_u32_e32 v22, vcc, s24, v2
	v_addc_co_u32_e32 v23, vcc, v5, v1, vcc
	v_cmp_eq_u64_e32 vcc, 0, v[22:23]
	v_cndmask_b32_e32 v23, v23, v5, vcc
	v_cndmask_b32_e32 v22, v22, v2, vcc
	v_and_b32_e32 v1, v23, v9
	v_and_b32_e32 v2, v22, v8
	v_mul_lo_u32 v1, v1, 24
	v_mul_hi_u32 v5, v2, 24
	v_mul_lo_u32 v2, v2, 24
	v_add_u32_e32 v1, v5, v1
	s_waitcnt vmcnt(0)
	v_add_co_u32_e32 v8, vcc, v18, v2
	v_addc_co_u32_e32 v9, vcc, v19, v1, vcc
	v_mov_b32_e32 v24, v12
	global_store_dwordx2 v[8:9], v[12:13], off
	v_mov_b32_e32 v25, v13
	buffer_wbl2
	s_waitcnt vmcnt(0)
	global_atomic_cmpswap_x2 v[24:25], v3, v[22:25], s[16:17] offset:24 glc
	s_waitcnt vmcnt(0)
	v_cmp_ne_u64_e32 vcc, v[24:25], v[12:13]
	s_and_b64 exec, exec, vcc
	s_cbranch_execz .LBB6_34
; %bb.114:                              ;   in Loop: Header=BB6_35 Depth=3
	s_mov_b64 s[2:3], 0
.LBB6_115:                              ;   Parent Loop BB6_3 Depth=1
                                        ;     Parent Loop BB6_6 Depth=2
                                        ;       Parent Loop BB6_35 Depth=3
                                        ; =>      This Inner Loop Header: Depth=4
	s_sleep 1
	global_store_dwordx2 v[8:9], v[24:25], off
	buffer_wbl2
	s_waitcnt vmcnt(0)
	global_atomic_cmpswap_x2 v[12:13], v3, v[22:25], s[16:17] offset:24 glc
	s_waitcnt vmcnt(0)
	v_cmp_eq_u64_e32 vcc, v[12:13], v[24:25]
	s_or_b64 s[2:3], vcc, s[2:3]
	v_pk_mov_b32 v[24:25], v[12:13], v[12:13] op_sel:[0,1]
	s_andn2_b64 exec, exec, s[2:3]
	s_cbranch_execnz .LBB6_115
	s_branch .LBB6_34
.LBB6_116:                              ;   in Loop: Header=BB6_6 Depth=2
.LBB6_117:                              ;   in Loop: Header=BB6_6 Depth=2
	s_and_b64 vcc, exec, s[14:15]
	s_cbranch_vccz .LBB6_230
.LBB6_118:                              ;   in Loop: Header=BB6_6 Depth=2
	s_waitcnt vmcnt(0)
	v_and_b32_e32 v4, 2, v16
	v_and_b32_e32 v18, -3, v16
	v_mov_b32_e32 v19, v17
	s_mov_b64 s[20:21], 53
	s_getpc_b64 s[18:19]
	s_add_u32 s18, s18, .str.8@rel32@lo+4
	s_addc_u32 s19, s19, .str.8@rel32@hi+12
	s_branch .LBB6_120
.LBB6_119:                              ;   in Loop: Header=BB6_120 Depth=3
	s_or_b64 exec, exec, s[26:27]
	s_sub_u32 s20, s20, s22
	s_subb_u32 s21, s21, s23
	s_add_u32 s18, s18, s22
	s_addc_u32 s19, s19, s23
	s_cmp_lg_u64 s[20:21], 0
	s_cbranch_scc0 .LBB6_201
.LBB6_120:                              ;   Parent Loop BB6_3 Depth=1
                                        ;     Parent Loop BB6_6 Depth=2
                                        ; =>    This Loop Header: Depth=3
                                        ;         Child Loop BB6_123 Depth 4
                                        ;         Child Loop BB6_130 Depth 4
	;; [unrolled: 1-line block ×11, first 2 shown]
	v_cmp_lt_u64_e64 s[2:3], s[20:21], 56
	s_and_b64 s[2:3], s[2:3], exec
	v_cmp_gt_u64_e64 s[2:3], s[20:21], 7
	s_cselect_b32 s23, s21, 0
	s_cselect_b32 s22, s20, 56
	s_and_b64 vcc, exec, s[2:3]
	s_cbranch_vccnz .LBB6_125
; %bb.121:                              ;   in Loop: Header=BB6_120 Depth=3
	s_mov_b64 s[2:3], 0
	s_cmp_eq_u64 s[20:21], 0
	s_waitcnt vmcnt(0)
	v_pk_mov_b32 v[20:21], 0, 0
	s_cbranch_scc1 .LBB6_124
; %bb.122:                              ;   in Loop: Header=BB6_120 Depth=3
	s_lshl_b64 s[24:25], s[22:23], 3
	s_mov_b64 s[26:27], 0
	v_pk_mov_b32 v[20:21], 0, 0
	s_mov_b64 s[28:29], s[18:19]
.LBB6_123:                              ;   Parent Loop BB6_3 Depth=1
                                        ;     Parent Loop BB6_6 Depth=2
                                        ;       Parent Loop BB6_120 Depth=3
                                        ; =>      This Inner Loop Header: Depth=4
	global_load_ubyte v1, v3, s[28:29]
	s_waitcnt vmcnt(0)
	v_and_b32_e32 v2, 0xffff, v1
	v_lshlrev_b64 v[8:9], s26, v[2:3]
	s_add_u32 s26, s26, 8
	s_addc_u32 s27, s27, 0
	s_add_u32 s28, s28, 1
	s_addc_u32 s29, s29, 0
	v_or_b32_e32 v20, v8, v20
	s_cmp_lg_u32 s24, s26
	v_or_b32_e32 v21, v9, v21
	s_cbranch_scc1 .LBB6_123
.LBB6_124:                              ;   in Loop: Header=BB6_120 Depth=3
	s_mov_b32 s28, 0
	s_andn2_b64 vcc, exec, s[2:3]
	s_mov_b64 s[2:3], s[18:19]
	s_cbranch_vccz .LBB6_126
	s_branch .LBB6_127
.LBB6_125:                              ;   in Loop: Header=BB6_120 Depth=3
                                        ; implicit-def: $vgpr20_vgpr21
                                        ; implicit-def: $sgpr28
	s_mov_b64 s[2:3], s[18:19]
.LBB6_126:                              ;   in Loop: Header=BB6_120 Depth=3
	global_load_dwordx2 v[20:21], v3, s[18:19]
	s_add_i32 s28, s22, -8
	s_add_u32 s2, s18, 8
	s_addc_u32 s3, s19, 0
.LBB6_127:                              ;   in Loop: Header=BB6_120 Depth=3
	s_cmp_gt_u32 s28, 7
	s_cbranch_scc1 .LBB6_131
; %bb.128:                              ;   in Loop: Header=BB6_120 Depth=3
	s_cmp_eq_u32 s28, 0
	s_cbranch_scc1 .LBB6_132
; %bb.129:                              ;   in Loop: Header=BB6_120 Depth=3
	s_mov_b64 s[24:25], 0
	v_pk_mov_b32 v[22:23], 0, 0
	s_mov_b64 s[26:27], 0
.LBB6_130:                              ;   Parent Loop BB6_3 Depth=1
                                        ;     Parent Loop BB6_6 Depth=2
                                        ;       Parent Loop BB6_120 Depth=3
                                        ; =>      This Inner Loop Header: Depth=4
	s_add_u32 s30, s2, s26
	s_addc_u32 s31, s3, s27
	global_load_ubyte v1, v3, s[30:31]
	s_add_u32 s26, s26, 1
	s_addc_u32 s27, s27, 0
	s_waitcnt vmcnt(0)
	v_and_b32_e32 v2, 0xffff, v1
	v_lshlrev_b64 v[8:9], s24, v[2:3]
	s_add_u32 s24, s24, 8
	s_addc_u32 s25, s25, 0
	v_or_b32_e32 v22, v8, v22
	s_cmp_lg_u32 s28, s26
	v_or_b32_e32 v23, v9, v23
	s_cbranch_scc1 .LBB6_130
	s_branch .LBB6_133
.LBB6_131:                              ;   in Loop: Header=BB6_120 Depth=3
                                        ; implicit-def: $vgpr22_vgpr23
                                        ; implicit-def: $sgpr29
	s_branch .LBB6_134
.LBB6_132:                              ;   in Loop: Header=BB6_120 Depth=3
	v_pk_mov_b32 v[22:23], 0, 0
.LBB6_133:                              ;   in Loop: Header=BB6_120 Depth=3
	s_mov_b32 s29, 0
	s_cbranch_execnz .LBB6_135
.LBB6_134:                              ;   in Loop: Header=BB6_120 Depth=3
	global_load_dwordx2 v[22:23], v3, s[2:3]
	s_add_i32 s29, s28, -8
	s_add_u32 s2, s2, 8
	s_addc_u32 s3, s3, 0
.LBB6_135:                              ;   in Loop: Header=BB6_120 Depth=3
	s_cmp_gt_u32 s29, 7
	s_cbranch_scc1 .LBB6_139
; %bb.136:                              ;   in Loop: Header=BB6_120 Depth=3
	s_cmp_eq_u32 s29, 0
	s_cbranch_scc1 .LBB6_140
; %bb.137:                              ;   in Loop: Header=BB6_120 Depth=3
	s_mov_b64 s[24:25], 0
	v_pk_mov_b32 v[24:25], 0, 0
	s_mov_b64 s[26:27], 0
.LBB6_138:                              ;   Parent Loop BB6_3 Depth=1
                                        ;     Parent Loop BB6_6 Depth=2
                                        ;       Parent Loop BB6_120 Depth=3
                                        ; =>      This Inner Loop Header: Depth=4
	s_add_u32 s30, s2, s26
	s_addc_u32 s31, s3, s27
	global_load_ubyte v1, v3, s[30:31]
	s_add_u32 s26, s26, 1
	s_addc_u32 s27, s27, 0
	s_waitcnt vmcnt(0)
	v_and_b32_e32 v2, 0xffff, v1
	v_lshlrev_b64 v[8:9], s24, v[2:3]
	s_add_u32 s24, s24, 8
	s_addc_u32 s25, s25, 0
	v_or_b32_e32 v24, v8, v24
	s_cmp_lg_u32 s29, s26
	v_or_b32_e32 v25, v9, v25
	s_cbranch_scc1 .LBB6_138
	s_branch .LBB6_141
.LBB6_139:                              ;   in Loop: Header=BB6_120 Depth=3
                                        ; implicit-def: $sgpr28
	s_branch .LBB6_142
.LBB6_140:                              ;   in Loop: Header=BB6_120 Depth=3
	v_pk_mov_b32 v[24:25], 0, 0
.LBB6_141:                              ;   in Loop: Header=BB6_120 Depth=3
	s_mov_b32 s28, 0
	s_cbranch_execnz .LBB6_143
.LBB6_142:                              ;   in Loop: Header=BB6_120 Depth=3
	global_load_dwordx2 v[24:25], v3, s[2:3]
	s_add_i32 s28, s29, -8
	s_add_u32 s2, s2, 8
	s_addc_u32 s3, s3, 0
.LBB6_143:                              ;   in Loop: Header=BB6_120 Depth=3
	s_cmp_gt_u32 s28, 7
	s_cbranch_scc1 .LBB6_147
; %bb.144:                              ;   in Loop: Header=BB6_120 Depth=3
	s_cmp_eq_u32 s28, 0
	s_cbranch_scc1 .LBB6_148
; %bb.145:                              ;   in Loop: Header=BB6_120 Depth=3
	s_mov_b64 s[24:25], 0
	v_pk_mov_b32 v[26:27], 0, 0
	s_mov_b64 s[26:27], 0
.LBB6_146:                              ;   Parent Loop BB6_3 Depth=1
                                        ;     Parent Loop BB6_6 Depth=2
                                        ;       Parent Loop BB6_120 Depth=3
                                        ; =>      This Inner Loop Header: Depth=4
	s_add_u32 s30, s2, s26
	s_addc_u32 s31, s3, s27
	global_load_ubyte v1, v3, s[30:31]
	s_add_u32 s26, s26, 1
	s_addc_u32 s27, s27, 0
	s_waitcnt vmcnt(0)
	v_and_b32_e32 v2, 0xffff, v1
	v_lshlrev_b64 v[8:9], s24, v[2:3]
	s_add_u32 s24, s24, 8
	s_addc_u32 s25, s25, 0
	v_or_b32_e32 v26, v8, v26
	s_cmp_lg_u32 s28, s26
	v_or_b32_e32 v27, v9, v27
	s_cbranch_scc1 .LBB6_146
	s_branch .LBB6_149
.LBB6_147:                              ;   in Loop: Header=BB6_120 Depth=3
                                        ; implicit-def: $vgpr26_vgpr27
                                        ; implicit-def: $sgpr29
	s_branch .LBB6_150
.LBB6_148:                              ;   in Loop: Header=BB6_120 Depth=3
	v_pk_mov_b32 v[26:27], 0, 0
.LBB6_149:                              ;   in Loop: Header=BB6_120 Depth=3
	s_mov_b32 s29, 0
	s_cbranch_execnz .LBB6_151
.LBB6_150:                              ;   in Loop: Header=BB6_120 Depth=3
	global_load_dwordx2 v[26:27], v3, s[2:3]
	s_add_i32 s29, s28, -8
	s_add_u32 s2, s2, 8
	s_addc_u32 s3, s3, 0
.LBB6_151:                              ;   in Loop: Header=BB6_120 Depth=3
	s_cmp_gt_u32 s29, 7
	s_cbranch_scc1 .LBB6_155
; %bb.152:                              ;   in Loop: Header=BB6_120 Depth=3
	s_cmp_eq_u32 s29, 0
	s_cbranch_scc1 .LBB6_156
; %bb.153:                              ;   in Loop: Header=BB6_120 Depth=3
	s_mov_b64 s[24:25], 0
	v_pk_mov_b32 v[28:29], 0, 0
	s_mov_b64 s[26:27], 0
.LBB6_154:                              ;   Parent Loop BB6_3 Depth=1
                                        ;     Parent Loop BB6_6 Depth=2
                                        ;       Parent Loop BB6_120 Depth=3
                                        ; =>      This Inner Loop Header: Depth=4
	s_add_u32 s30, s2, s26
	s_addc_u32 s31, s3, s27
	global_load_ubyte v1, v3, s[30:31]
	s_add_u32 s26, s26, 1
	s_addc_u32 s27, s27, 0
	s_waitcnt vmcnt(0)
	v_and_b32_e32 v2, 0xffff, v1
	v_lshlrev_b64 v[8:9], s24, v[2:3]
	s_add_u32 s24, s24, 8
	s_addc_u32 s25, s25, 0
	v_or_b32_e32 v28, v8, v28
	s_cmp_lg_u32 s29, s26
	v_or_b32_e32 v29, v9, v29
	s_cbranch_scc1 .LBB6_154
	s_branch .LBB6_157
.LBB6_155:                              ;   in Loop: Header=BB6_120 Depth=3
                                        ; implicit-def: $sgpr28
	s_branch .LBB6_158
.LBB6_156:                              ;   in Loop: Header=BB6_120 Depth=3
	v_pk_mov_b32 v[28:29], 0, 0
.LBB6_157:                              ;   in Loop: Header=BB6_120 Depth=3
	s_mov_b32 s28, 0
	s_cbranch_execnz .LBB6_159
.LBB6_158:                              ;   in Loop: Header=BB6_120 Depth=3
	global_load_dwordx2 v[28:29], v3, s[2:3]
	s_add_i32 s28, s29, -8
	s_add_u32 s2, s2, 8
	s_addc_u32 s3, s3, 0
.LBB6_159:                              ;   in Loop: Header=BB6_120 Depth=3
	s_cmp_gt_u32 s28, 7
	s_cbranch_scc1 .LBB6_163
; %bb.160:                              ;   in Loop: Header=BB6_120 Depth=3
	s_cmp_eq_u32 s28, 0
	s_cbranch_scc1 .LBB6_164
; %bb.161:                              ;   in Loop: Header=BB6_120 Depth=3
	s_mov_b64 s[24:25], 0
	v_pk_mov_b32 v[30:31], 0, 0
	s_mov_b64 s[26:27], 0
.LBB6_162:                              ;   Parent Loop BB6_3 Depth=1
                                        ;     Parent Loop BB6_6 Depth=2
                                        ;       Parent Loop BB6_120 Depth=3
                                        ; =>      This Inner Loop Header: Depth=4
	s_add_u32 s30, s2, s26
	s_addc_u32 s31, s3, s27
	global_load_ubyte v1, v3, s[30:31]
	s_add_u32 s26, s26, 1
	s_addc_u32 s27, s27, 0
	s_waitcnt vmcnt(0)
	v_and_b32_e32 v2, 0xffff, v1
	v_lshlrev_b64 v[8:9], s24, v[2:3]
	s_add_u32 s24, s24, 8
	s_addc_u32 s25, s25, 0
	v_or_b32_e32 v30, v8, v30
	s_cmp_lg_u32 s28, s26
	v_or_b32_e32 v31, v9, v31
	s_cbranch_scc1 .LBB6_162
	s_branch .LBB6_165
.LBB6_163:                              ;   in Loop: Header=BB6_120 Depth=3
                                        ; implicit-def: $vgpr30_vgpr31
                                        ; implicit-def: $sgpr29
	s_branch .LBB6_166
.LBB6_164:                              ;   in Loop: Header=BB6_120 Depth=3
	v_pk_mov_b32 v[30:31], 0, 0
.LBB6_165:                              ;   in Loop: Header=BB6_120 Depth=3
	s_mov_b32 s29, 0
	s_cbranch_execnz .LBB6_167
.LBB6_166:                              ;   in Loop: Header=BB6_120 Depth=3
	global_load_dwordx2 v[30:31], v3, s[2:3]
	s_add_i32 s29, s28, -8
	s_add_u32 s2, s2, 8
	s_addc_u32 s3, s3, 0
.LBB6_167:                              ;   in Loop: Header=BB6_120 Depth=3
	s_cmp_gt_u32 s29, 7
	s_cbranch_scc1 .LBB6_171
; %bb.168:                              ;   in Loop: Header=BB6_120 Depth=3
	s_cmp_eq_u32 s29, 0
	s_cbranch_scc1 .LBB6_172
; %bb.169:                              ;   in Loop: Header=BB6_120 Depth=3
	s_mov_b64 s[24:25], 0
	v_pk_mov_b32 v[32:33], 0, 0
	s_mov_b64 s[26:27], s[2:3]
.LBB6_170:                              ;   Parent Loop BB6_3 Depth=1
                                        ;     Parent Loop BB6_6 Depth=2
                                        ;       Parent Loop BB6_120 Depth=3
                                        ; =>      This Inner Loop Header: Depth=4
	global_load_ubyte v1, v3, s[26:27]
	s_add_i32 s29, s29, -1
	s_waitcnt vmcnt(0)
	v_and_b32_e32 v2, 0xffff, v1
	v_lshlrev_b64 v[8:9], s24, v[2:3]
	s_add_u32 s24, s24, 8
	s_addc_u32 s25, s25, 0
	s_add_u32 s26, s26, 1
	s_addc_u32 s27, s27, 0
	v_or_b32_e32 v32, v8, v32
	s_cmp_lg_u32 s29, 0
	v_or_b32_e32 v33, v9, v33
	s_cbranch_scc1 .LBB6_170
	s_branch .LBB6_173
.LBB6_171:                              ;   in Loop: Header=BB6_120 Depth=3
	s_branch .LBB6_174
.LBB6_172:                              ;   in Loop: Header=BB6_120 Depth=3
	v_pk_mov_b32 v[32:33], 0, 0
.LBB6_173:                              ;   in Loop: Header=BB6_120 Depth=3
	s_cbranch_execnz .LBB6_175
.LBB6_174:                              ;   in Loop: Header=BB6_120 Depth=3
	global_load_dwordx2 v[32:33], v3, s[2:3]
.LBB6_175:                              ;   in Loop: Header=BB6_120 Depth=3
	v_readfirstlane_b32 s2, v38
	v_cmp_eq_u32_e64 s[2:3], s2, v38
	v_pk_mov_b32 v[8:9], 0, 0
	s_and_saveexec_b64 s[24:25], s[2:3]
	s_cbranch_execz .LBB6_181
; %bb.176:                              ;   in Loop: Header=BB6_120 Depth=3
	global_load_dwordx2 v[36:37], v3, s[16:17] offset:24 glc
	s_waitcnt vmcnt(0)
	buffer_invl2
	buffer_wbinvl1_vol
	global_load_dwordx2 v[8:9], v3, s[16:17] offset:40
	global_load_dwordx2 v[12:13], v3, s[16:17]
	s_waitcnt vmcnt(1)
	v_and_b32_e32 v1, v8, v36
	v_and_b32_e32 v2, v9, v37
	v_mul_lo_u32 v2, v2, 24
	v_mul_hi_u32 v5, v1, 24
	v_mul_lo_u32 v1, v1, 24
	v_add_u32_e32 v2, v5, v2
	s_waitcnt vmcnt(0)
	v_add_co_u32_e32 v8, vcc, v12, v1
	v_addc_co_u32_e32 v9, vcc, v13, v2, vcc
	global_load_dwordx2 v[34:35], v[8:9], off glc
	s_waitcnt vmcnt(0)
	global_atomic_cmpswap_x2 v[8:9], v3, v[34:37], s[16:17] offset:24 glc
	s_waitcnt vmcnt(0)
	buffer_invl2
	buffer_wbinvl1_vol
	v_cmp_ne_u64_e32 vcc, v[8:9], v[36:37]
	s_and_saveexec_b64 s[26:27], vcc
	s_cbranch_execz .LBB6_180
; %bb.177:                              ;   in Loop: Header=BB6_120 Depth=3
	s_mov_b64 s[28:29], 0
.LBB6_178:                              ;   Parent Loop BB6_3 Depth=1
                                        ;     Parent Loop BB6_6 Depth=2
                                        ;       Parent Loop BB6_120 Depth=3
                                        ; =>      This Inner Loop Header: Depth=4
	s_sleep 1
	global_load_dwordx2 v[12:13], v3, s[16:17] offset:40
	global_load_dwordx2 v[34:35], v3, s[16:17]
	v_pk_mov_b32 v[36:37], v[8:9], v[8:9] op_sel:[0,1]
	s_waitcnt vmcnt(1)
	v_and_b32_e32 v2, v12, v36
	s_waitcnt vmcnt(0)
	v_mad_u64_u32 v[8:9], s[30:31], v2, 24, v[34:35]
	v_and_b32_e32 v1, v13, v37
	v_mov_b32_e32 v2, v9
	v_mad_u64_u32 v[12:13], s[30:31], v1, 24, v[2:3]
	v_mov_b32_e32 v9, v12
	global_load_dwordx2 v[34:35], v[8:9], off glc
	s_waitcnt vmcnt(0)
	global_atomic_cmpswap_x2 v[8:9], v3, v[34:37], s[16:17] offset:24 glc
	s_waitcnt vmcnt(0)
	buffer_invl2
	buffer_wbinvl1_vol
	v_cmp_eq_u64_e32 vcc, v[8:9], v[36:37]
	s_or_b64 s[28:29], vcc, s[28:29]
	s_andn2_b64 exec, exec, s[28:29]
	s_cbranch_execnz .LBB6_178
; %bb.179:                              ;   in Loop: Header=BB6_120 Depth=3
	s_or_b64 exec, exec, s[28:29]
.LBB6_180:                              ;   in Loop: Header=BB6_120 Depth=3
	s_or_b64 exec, exec, s[26:27]
.LBB6_181:                              ;   in Loop: Header=BB6_120 Depth=3
	s_or_b64 exec, exec, s[24:25]
	global_load_dwordx2 v[12:13], v3, s[16:17] offset:40
	global_load_dwordx4 v[34:37], v3, s[16:17]
	v_readfirstlane_b32 s24, v8
	v_readfirstlane_b32 s25, v9
	s_mov_b64 s[26:27], exec
	s_waitcnt vmcnt(1)
	v_readfirstlane_b32 s28, v12
	v_readfirstlane_b32 s29, v13
	s_and_b64 s[28:29], s[24:25], s[28:29]
	s_mul_i32 s30, s29, 24
	s_mul_hi_u32 s31, s28, 24
	s_mul_i32 s38, s28, 24
	s_add_i32 s30, s31, s30
	v_mov_b32_e32 v1, s30
	s_waitcnt vmcnt(0)
	v_add_co_u32_e32 v8, vcc, s38, v34
	v_addc_co_u32_e32 v9, vcc, v35, v1, vcc
	s_and_saveexec_b64 s[30:31], s[2:3]
	s_cbranch_execz .LBB6_183
; %bb.182:                              ;   in Loop: Header=BB6_120 Depth=3
	v_pk_mov_b32 v[12:13], s[26:27], s[26:27] op_sel:[0,1]
	global_store_dwordx4 v[8:9], v[12:15], off offset:8
.LBB6_183:                              ;   in Loop: Header=BB6_120 Depth=3
	s_or_b64 exec, exec, s[30:31]
	s_lshl_b64 s[26:27], s[28:29], 12
	v_mov_b32_e32 v1, s27
	v_add_co_u32_e32 v12, vcc, s26, v36
	v_addc_co_u32_e32 v1, vcc, v37, v1, vcc
	v_or_b32_e32 v2, 0, v19
	v_or_b32_e32 v5, v18, v4
	v_cmp_gt_u64_e64 vcc, s[20:21], 56
	s_lshl_b32 s26, s22, 2
	v_cndmask_b32_e32 v19, v2, v19, vcc
	v_cndmask_b32_e32 v2, v5, v18, vcc
	s_add_i32 s26, s26, 28
	s_and_b32 s26, s26, 0x1e0
	v_and_b32_e32 v2, 0xffffff1f, v2
	v_or_b32_e32 v18, s26, v2
	v_readfirstlane_b32 s26, v12
	v_readfirstlane_b32 s27, v1
	s_nop 4
	global_store_dwordx4 v39, v[18:21], s[26:27]
	global_store_dwordx4 v39, v[22:25], s[26:27] offset:16
	global_store_dwordx4 v39, v[26:29], s[26:27] offset:32
	;; [unrolled: 1-line block ×3, first 2 shown]
	s_and_saveexec_b64 s[26:27], s[2:3]
	s_cbranch_execz .LBB6_191
; %bb.184:                              ;   in Loop: Header=BB6_120 Depth=3
	global_load_dwordx2 v[26:27], v3, s[16:17] offset:32 glc
	global_load_dwordx2 v[18:19], v3, s[16:17] offset:40
	v_mov_b32_e32 v24, s24
	v_mov_b32_e32 v25, s25
	s_waitcnt vmcnt(0)
	v_readfirstlane_b32 s28, v18
	v_readfirstlane_b32 s29, v19
	s_and_b64 s[28:29], s[28:29], s[24:25]
	s_mul_i32 s29, s29, 24
	s_mul_hi_u32 s30, s28, 24
	s_mul_i32 s28, s28, 24
	s_add_i32 s29, s30, s29
	v_mov_b32_e32 v2, s29
	v_add_co_u32_e32 v22, vcc, s28, v34
	v_addc_co_u32_e32 v23, vcc, v35, v2, vcc
	global_store_dwordx2 v[22:23], v[26:27], off
	buffer_wbl2
	s_waitcnt vmcnt(0)
	global_atomic_cmpswap_x2 v[20:21], v3, v[24:27], s[16:17] offset:32 glc
	s_waitcnt vmcnt(0)
	v_cmp_ne_u64_e32 vcc, v[20:21], v[26:27]
	s_and_saveexec_b64 s[28:29], vcc
	s_cbranch_execz .LBB6_187
; %bb.185:                              ;   in Loop: Header=BB6_120 Depth=3
	s_mov_b64 s[30:31], 0
.LBB6_186:                              ;   Parent Loop BB6_3 Depth=1
                                        ;     Parent Loop BB6_6 Depth=2
                                        ;       Parent Loop BB6_120 Depth=3
                                        ; =>      This Inner Loop Header: Depth=4
	s_sleep 1
	global_store_dwordx2 v[22:23], v[20:21], off
	v_mov_b32_e32 v18, s24
	v_mov_b32_e32 v19, s25
	buffer_wbl2
	s_waitcnt vmcnt(0)
	global_atomic_cmpswap_x2 v[18:19], v3, v[18:21], s[16:17] offset:32 glc
	s_waitcnt vmcnt(0)
	v_cmp_eq_u64_e32 vcc, v[18:19], v[20:21]
	s_or_b64 s[30:31], vcc, s[30:31]
	v_pk_mov_b32 v[20:21], v[18:19], v[18:19] op_sel:[0,1]
	s_andn2_b64 exec, exec, s[30:31]
	s_cbranch_execnz .LBB6_186
.LBB6_187:                              ;   in Loop: Header=BB6_120 Depth=3
	s_or_b64 exec, exec, s[28:29]
	global_load_dwordx2 v[18:19], v3, s[16:17] offset:16
	s_mov_b64 s[30:31], exec
	v_mbcnt_lo_u32_b32 v2, s30, 0
	v_mbcnt_hi_u32_b32 v2, s31, v2
	v_cmp_eq_u32_e32 vcc, 0, v2
	s_and_saveexec_b64 s[28:29], vcc
	s_cbranch_execz .LBB6_189
; %bb.188:                              ;   in Loop: Header=BB6_120 Depth=3
	s_bcnt1_i32_b64 s30, s[30:31]
	v_mov_b32_e32 v2, s30
	buffer_wbl2
	s_waitcnt vmcnt(0)
	global_atomic_add_x2 v[18:19], v[2:3], off offset:8
.LBB6_189:                              ;   in Loop: Header=BB6_120 Depth=3
	s_or_b64 exec, exec, s[28:29]
	s_waitcnt vmcnt(0)
	global_load_dwordx2 v[20:21], v[18:19], off offset:16
	s_waitcnt vmcnt(0)
	v_cmp_eq_u64_e32 vcc, 0, v[20:21]
	s_cbranch_vccnz .LBB6_191
; %bb.190:                              ;   in Loop: Header=BB6_120 Depth=3
	global_load_dword v2, v[18:19], off offset:24
	buffer_wbl2
	s_waitcnt vmcnt(0)
	global_store_dwordx2 v[20:21], v[2:3], off
	v_and_b32_e32 v2, 0xffffff, v2
	v_readfirstlane_b32 m0, v2
	s_sendmsg sendmsg(MSG_INTERRUPT)
.LBB6_191:                              ;   in Loop: Header=BB6_120 Depth=3
	s_or_b64 exec, exec, s[26:27]
	v_add_co_u32_e32 v12, vcc, v12, v39
	v_addc_co_u32_e32 v13, vcc, 0, v1, vcc
	s_branch .LBB6_195
.LBB6_192:                              ;   in Loop: Header=BB6_195 Depth=4
	s_or_b64 exec, exec, s[26:27]
	v_readfirstlane_b32 s26, v1
	s_cmp_eq_u32 s26, 0
	s_cbranch_scc1 .LBB6_194
; %bb.193:                              ;   in Loop: Header=BB6_195 Depth=4
	s_sleep 1
	s_cbranch_execnz .LBB6_195
	s_branch .LBB6_197
.LBB6_194:                              ;   in Loop: Header=BB6_120 Depth=3
	s_branch .LBB6_197
.LBB6_195:                              ;   Parent Loop BB6_3 Depth=1
                                        ;     Parent Loop BB6_6 Depth=2
                                        ;       Parent Loop BB6_120 Depth=3
                                        ; =>      This Inner Loop Header: Depth=4
	v_mov_b32_e32 v1, 1
	s_and_saveexec_b64 s[26:27], s[2:3]
	s_cbranch_execz .LBB6_192
; %bb.196:                              ;   in Loop: Header=BB6_195 Depth=4
	global_load_dword v1, v[8:9], off offset:20 glc
	s_waitcnt vmcnt(0)
	buffer_invl2
	buffer_wbinvl1_vol
	v_and_b32_e32 v1, 1, v1
	s_branch .LBB6_192
.LBB6_197:                              ;   in Loop: Header=BB6_120 Depth=3
	global_load_dwordx4 v[18:21], v[12:13], off
	s_and_saveexec_b64 s[26:27], s[2:3]
	s_cbranch_execz .LBB6_119
; %bb.198:                              ;   in Loop: Header=BB6_120 Depth=3
	global_load_dwordx2 v[8:9], v3, s[16:17] offset:40
	global_load_dwordx2 v[12:13], v3, s[16:17] offset:24 glc
	global_load_dwordx2 v[24:25], v3, s[16:17]
	v_mov_b32_e32 v1, s25
	s_waitcnt vmcnt(2)
	v_add_co_u32_e32 v2, vcc, 1, v8
	v_addc_co_u32_e32 v5, vcc, 0, v9, vcc
	v_add_co_u32_e32 v20, vcc, s24, v2
	v_addc_co_u32_e32 v21, vcc, v5, v1, vcc
	v_cmp_eq_u64_e32 vcc, 0, v[20:21]
	v_cndmask_b32_e32 v21, v21, v5, vcc
	v_cndmask_b32_e32 v20, v20, v2, vcc
	v_and_b32_e32 v1, v21, v9
	v_and_b32_e32 v2, v20, v8
	v_mul_lo_u32 v1, v1, 24
	v_mul_hi_u32 v5, v2, 24
	v_mul_lo_u32 v2, v2, 24
	v_add_u32_e32 v1, v5, v1
	s_waitcnt vmcnt(0)
	v_add_co_u32_e32 v8, vcc, v24, v2
	v_addc_co_u32_e32 v9, vcc, v25, v1, vcc
	v_mov_b32_e32 v22, v12
	global_store_dwordx2 v[8:9], v[12:13], off
	v_mov_b32_e32 v23, v13
	buffer_wbl2
	s_waitcnt vmcnt(0)
	global_atomic_cmpswap_x2 v[22:23], v3, v[20:23], s[16:17] offset:24 glc
	s_waitcnt vmcnt(0)
	v_cmp_ne_u64_e32 vcc, v[22:23], v[12:13]
	s_and_b64 exec, exec, vcc
	s_cbranch_execz .LBB6_119
; %bb.199:                              ;   in Loop: Header=BB6_120 Depth=3
	s_mov_b64 s[2:3], 0
.LBB6_200:                              ;   Parent Loop BB6_3 Depth=1
                                        ;     Parent Loop BB6_6 Depth=2
                                        ;       Parent Loop BB6_120 Depth=3
                                        ; =>      This Inner Loop Header: Depth=4
	s_sleep 1
	global_store_dwordx2 v[8:9], v[22:23], off
	buffer_wbl2
	s_waitcnt vmcnt(0)
	global_atomic_cmpswap_x2 v[12:13], v3, v[20:23], s[16:17] offset:24 glc
	s_waitcnt vmcnt(0)
	v_cmp_eq_u64_e32 vcc, v[12:13], v[22:23]
	s_or_b64 s[2:3], vcc, s[2:3]
	v_pk_mov_b32 v[22:23], v[12:13], v[12:13] op_sel:[0,1]
	s_andn2_b64 exec, exec, s[2:3]
	s_cbranch_execnz .LBB6_200
	s_branch .LBB6_119
.LBB6_201:                              ;   in Loop: Header=BB6_6 Depth=2
	s_branch .LBB6_258
.LBB6_202:                              ;   in Loop: Header=BB6_6 Depth=2
                                        ; implicit-def: $vgpr16_vgpr17
	s_cbranch_execz .LBB6_117
; %bb.203:                              ;   in Loop: Header=BB6_6 Depth=2
	v_readfirstlane_b32 s2, v38
	v_cmp_eq_u32_e64 s[2:3], s2, v38
	v_pk_mov_b32 v[4:5], 0, 0
	s_and_saveexec_b64 s[18:19], s[2:3]
	s_cbranch_execz .LBB6_209
; %bb.204:                              ;   in Loop: Header=BB6_6 Depth=2
	global_load_dwordx2 v[18:19], v3, s[16:17] offset:24 glc
	s_waitcnt vmcnt(0)
	buffer_invl2
	buffer_wbinvl1_vol
	global_load_dwordx2 v[4:5], v3, s[16:17] offset:40
	global_load_dwordx2 v[8:9], v3, s[16:17]
	s_waitcnt vmcnt(1)
	v_and_b32_e32 v1, v4, v18
	v_and_b32_e32 v2, v5, v19
	v_mul_lo_u32 v2, v2, 24
	v_mul_hi_u32 v4, v1, 24
	v_mul_lo_u32 v1, v1, 24
	v_add_u32_e32 v2, v4, v2
	s_waitcnt vmcnt(0)
	v_add_co_u32_e32 v4, vcc, v8, v1
	v_addc_co_u32_e32 v5, vcc, v9, v2, vcc
	global_load_dwordx2 v[16:17], v[4:5], off glc
	s_waitcnt vmcnt(0)
	global_atomic_cmpswap_x2 v[4:5], v3, v[16:19], s[16:17] offset:24 glc
	s_waitcnt vmcnt(0)
	buffer_invl2
	buffer_wbinvl1_vol
	v_cmp_ne_u64_e32 vcc, v[4:5], v[18:19]
	s_and_saveexec_b64 s[20:21], vcc
	s_cbranch_execz .LBB6_208
; %bb.205:                              ;   in Loop: Header=BB6_6 Depth=2
	s_mov_b64 s[22:23], 0
.LBB6_206:                              ;   Parent Loop BB6_3 Depth=1
                                        ;     Parent Loop BB6_6 Depth=2
                                        ; =>    This Inner Loop Header: Depth=3
	s_sleep 1
	global_load_dwordx2 v[8:9], v3, s[16:17] offset:40
	global_load_dwordx2 v[12:13], v3, s[16:17]
	v_pk_mov_b32 v[18:19], v[4:5], v[4:5] op_sel:[0,1]
	s_waitcnt vmcnt(1)
	v_and_b32_e32 v2, v8, v18
	s_waitcnt vmcnt(0)
	v_mad_u64_u32 v[4:5], s[24:25], v2, 24, v[12:13]
	v_and_b32_e32 v1, v9, v19
	v_mov_b32_e32 v2, v5
	v_mad_u64_u32 v[8:9], s[24:25], v1, 24, v[2:3]
	v_mov_b32_e32 v5, v8
	global_load_dwordx2 v[16:17], v[4:5], off glc
	s_waitcnt vmcnt(0)
	global_atomic_cmpswap_x2 v[4:5], v3, v[16:19], s[16:17] offset:24 glc
	s_waitcnt vmcnt(0)
	buffer_invl2
	buffer_wbinvl1_vol
	v_cmp_eq_u64_e32 vcc, v[4:5], v[18:19]
	s_or_b64 s[22:23], vcc, s[22:23]
	s_andn2_b64 exec, exec, s[22:23]
	s_cbranch_execnz .LBB6_206
; %bb.207:                              ;   in Loop: Header=BB6_6 Depth=2
	s_or_b64 exec, exec, s[22:23]
.LBB6_208:                              ;   in Loop: Header=BB6_6 Depth=2
	s_or_b64 exec, exec, s[20:21]
.LBB6_209:                              ;   in Loop: Header=BB6_6 Depth=2
	s_or_b64 exec, exec, s[18:19]
	global_load_dwordx2 v[8:9], v3, s[16:17] offset:40
	global_load_dwordx4 v[16:19], v3, s[16:17]
	v_readfirstlane_b32 s18, v4
	v_readfirstlane_b32 s19, v5
	s_mov_b64 s[20:21], exec
	s_waitcnt vmcnt(1)
	v_readfirstlane_b32 s22, v8
	v_readfirstlane_b32 s23, v9
	s_and_b64 s[22:23], s[18:19], s[22:23]
	s_mul_i32 s24, s23, 24
	s_mul_hi_u32 s25, s22, 24
	s_mul_i32 s26, s22, 24
	s_add_i32 s24, s25, s24
	v_mov_b32_e32 v1, s24
	s_waitcnt vmcnt(0)
	v_add_co_u32_e32 v4, vcc, s26, v16
	v_addc_co_u32_e32 v5, vcc, v17, v1, vcc
	s_and_saveexec_b64 s[24:25], s[2:3]
	s_cbranch_execz .LBB6_211
; %bb.210:                              ;   in Loop: Header=BB6_6 Depth=2
	v_pk_mov_b32 v[12:13], s[20:21], s[20:21] op_sel:[0,1]
	global_store_dwordx4 v[4:5], v[12:15], off offset:8
.LBB6_211:                              ;   in Loop: Header=BB6_6 Depth=2
	s_or_b64 exec, exec, s[24:25]
	s_lshl_b64 s[20:21], s[22:23], 12
	v_mov_b32_e32 v1, s21
	v_add_co_u32_e32 v8, vcc, s20, v18
	v_addc_co_u32_e32 v1, vcc, v19, v1, vcc
	v_and_or_b32 v20, v20, s34, 32
	v_mov_b32_e32 v22, v3
	v_mov_b32_e32 v23, v3
	v_readfirstlane_b32 s20, v8
	v_readfirstlane_b32 s21, v1
	s_nop 4
	global_store_dwordx4 v39, v[20:23], s[20:21]
	s_nop 0
	v_pk_mov_b32 v[20:21], s[6:7], s[6:7] op_sel:[0,1]
	v_pk_mov_b32 v[18:19], s[4:5], s[4:5] op_sel:[0,1]
	global_store_dwordx4 v39, v[18:21], s[20:21] offset:16
	global_store_dwordx4 v39, v[18:21], s[20:21] offset:32
	;; [unrolled: 1-line block ×3, first 2 shown]
	s_and_saveexec_b64 s[20:21], s[2:3]
	s_cbranch_execz .LBB6_219
; %bb.212:                              ;   in Loop: Header=BB6_6 Depth=2
	global_load_dwordx2 v[20:21], v3, s[16:17] offset:32 glc
	global_load_dwordx2 v[12:13], v3, s[16:17] offset:40
	v_mov_b32_e32 v18, s18
	v_mov_b32_e32 v19, s19
	s_waitcnt vmcnt(0)
	v_readfirstlane_b32 s22, v12
	v_readfirstlane_b32 s23, v13
	s_and_b64 s[22:23], s[22:23], s[18:19]
	s_mul_i32 s23, s23, 24
	s_mul_hi_u32 s24, s22, 24
	s_mul_i32 s22, s22, 24
	s_add_i32 s23, s24, s23
	v_mov_b32_e32 v2, s23
	v_add_co_u32_e32 v12, vcc, s22, v16
	v_addc_co_u32_e32 v13, vcc, v17, v2, vcc
	global_store_dwordx2 v[12:13], v[20:21], off
	buffer_wbl2
	s_waitcnt vmcnt(0)
	global_atomic_cmpswap_x2 v[18:19], v3, v[18:21], s[16:17] offset:32 glc
	s_waitcnt vmcnt(0)
	v_cmp_ne_u64_e32 vcc, v[18:19], v[20:21]
	s_and_saveexec_b64 s[22:23], vcc
	s_cbranch_execz .LBB6_215
; %bb.213:                              ;   in Loop: Header=BB6_6 Depth=2
	s_mov_b64 s[24:25], 0
.LBB6_214:                              ;   Parent Loop BB6_3 Depth=1
                                        ;     Parent Loop BB6_6 Depth=2
                                        ; =>    This Inner Loop Header: Depth=3
	s_sleep 1
	global_store_dwordx2 v[12:13], v[18:19], off
	v_mov_b32_e32 v16, s18
	v_mov_b32_e32 v17, s19
	buffer_wbl2
	s_waitcnt vmcnt(0)
	global_atomic_cmpswap_x2 v[16:17], v3, v[16:19], s[16:17] offset:32 glc
	s_waitcnt vmcnt(0)
	v_cmp_eq_u64_e32 vcc, v[16:17], v[18:19]
	s_or_b64 s[24:25], vcc, s[24:25]
	v_pk_mov_b32 v[18:19], v[16:17], v[16:17] op_sel:[0,1]
	s_andn2_b64 exec, exec, s[24:25]
	s_cbranch_execnz .LBB6_214
.LBB6_215:                              ;   in Loop: Header=BB6_6 Depth=2
	s_or_b64 exec, exec, s[22:23]
	global_load_dwordx2 v[12:13], v3, s[16:17] offset:16
	s_mov_b64 s[24:25], exec
	v_mbcnt_lo_u32_b32 v2, s24, 0
	v_mbcnt_hi_u32_b32 v2, s25, v2
	v_cmp_eq_u32_e32 vcc, 0, v2
	s_and_saveexec_b64 s[22:23], vcc
	s_cbranch_execz .LBB6_217
; %bb.216:                              ;   in Loop: Header=BB6_6 Depth=2
	s_bcnt1_i32_b64 s24, s[24:25]
	v_mov_b32_e32 v2, s24
	buffer_wbl2
	s_waitcnt vmcnt(0)
	global_atomic_add_x2 v[12:13], v[2:3], off offset:8
.LBB6_217:                              ;   in Loop: Header=BB6_6 Depth=2
	s_or_b64 exec, exec, s[22:23]
	s_waitcnt vmcnt(0)
	global_load_dwordx2 v[16:17], v[12:13], off offset:16
	s_waitcnt vmcnt(0)
	v_cmp_eq_u64_e32 vcc, 0, v[16:17]
	s_cbranch_vccnz .LBB6_219
; %bb.218:                              ;   in Loop: Header=BB6_6 Depth=2
	global_load_dword v2, v[12:13], off offset:24
	buffer_wbl2
	s_waitcnt vmcnt(0)
	global_store_dwordx2 v[16:17], v[2:3], off
	v_and_b32_e32 v2, 0xffffff, v2
	v_readfirstlane_b32 m0, v2
	s_sendmsg sendmsg(MSG_INTERRUPT)
.LBB6_219:                              ;   in Loop: Header=BB6_6 Depth=2
	s_or_b64 exec, exec, s[20:21]
	v_add_co_u32_e32 v8, vcc, v8, v39
	v_addc_co_u32_e32 v9, vcc, 0, v1, vcc
	s_branch .LBB6_223
.LBB6_220:                              ;   in Loop: Header=BB6_223 Depth=3
	s_or_b64 exec, exec, s[20:21]
	v_readfirstlane_b32 s20, v1
	s_cmp_eq_u32 s20, 0
	s_cbranch_scc1 .LBB6_222
; %bb.221:                              ;   in Loop: Header=BB6_223 Depth=3
	s_sleep 1
	s_cbranch_execnz .LBB6_223
	s_branch .LBB6_225
.LBB6_222:                              ;   in Loop: Header=BB6_6 Depth=2
	s_branch .LBB6_225
.LBB6_223:                              ;   Parent Loop BB6_3 Depth=1
                                        ;     Parent Loop BB6_6 Depth=2
                                        ; =>    This Inner Loop Header: Depth=3
	v_mov_b32_e32 v1, 1
	s_and_saveexec_b64 s[20:21], s[2:3]
	s_cbranch_execz .LBB6_220
; %bb.224:                              ;   in Loop: Header=BB6_223 Depth=3
	global_load_dword v1, v[4:5], off offset:20 glc
	s_waitcnt vmcnt(0)
	buffer_invl2
	buffer_wbinvl1_vol
	v_and_b32_e32 v1, 1, v1
	s_branch .LBB6_220
.LBB6_225:                              ;   in Loop: Header=BB6_6 Depth=2
	global_load_dwordx2 v[16:17], v[8:9], off
	s_and_saveexec_b64 s[20:21], s[2:3]
	s_cbranch_execz .LBB6_229
; %bb.226:                              ;   in Loop: Header=BB6_6 Depth=2
	global_load_dwordx2 v[4:5], v3, s[16:17] offset:40
	global_load_dwordx2 v[8:9], v3, s[16:17] offset:24 glc
	global_load_dwordx2 v[12:13], v3, s[16:17]
	v_mov_b32_e32 v1, s19
	s_waitcnt vmcnt(2)
	v_add_co_u32_e32 v2, vcc, 1, v4
	v_addc_co_u32_e32 v21, vcc, 0, v5, vcc
	v_add_co_u32_e32 v18, vcc, s18, v2
	v_addc_co_u32_e32 v19, vcc, v21, v1, vcc
	v_cmp_eq_u64_e32 vcc, 0, v[18:19]
	v_cndmask_b32_e32 v19, v19, v21, vcc
	v_cndmask_b32_e32 v18, v18, v2, vcc
	v_and_b32_e32 v1, v19, v5
	v_and_b32_e32 v2, v18, v4
	v_mul_lo_u32 v1, v1, 24
	v_mul_hi_u32 v4, v2, 24
	v_mul_lo_u32 v2, v2, 24
	v_add_u32_e32 v1, v4, v1
	s_waitcnt vmcnt(0)
	v_add_co_u32_e32 v4, vcc, v12, v2
	v_addc_co_u32_e32 v5, vcc, v13, v1, vcc
	v_mov_b32_e32 v20, v8
	global_store_dwordx2 v[4:5], v[8:9], off
	v_mov_b32_e32 v21, v9
	buffer_wbl2
	s_waitcnt vmcnt(0)
	global_atomic_cmpswap_x2 v[20:21], v3, v[18:21], s[16:17] offset:24 glc
	s_waitcnt vmcnt(0)
	v_cmp_ne_u64_e32 vcc, v[20:21], v[8:9]
	s_and_b64 exec, exec, vcc
	s_cbranch_execz .LBB6_229
; %bb.227:                              ;   in Loop: Header=BB6_6 Depth=2
	s_mov_b64 s[2:3], 0
.LBB6_228:                              ;   Parent Loop BB6_3 Depth=1
                                        ;     Parent Loop BB6_6 Depth=2
                                        ; =>    This Inner Loop Header: Depth=3
	s_sleep 1
	global_store_dwordx2 v[4:5], v[20:21], off
	buffer_wbl2
	s_waitcnt vmcnt(0)
	global_atomic_cmpswap_x2 v[8:9], v3, v[18:21], s[16:17] offset:24 glc
	s_waitcnt vmcnt(0)
	v_cmp_eq_u64_e32 vcc, v[8:9], v[20:21]
	s_or_b64 s[2:3], vcc, s[2:3]
	v_pk_mov_b32 v[20:21], v[8:9], v[8:9] op_sel:[0,1]
	s_andn2_b64 exec, exec, s[2:3]
	s_cbranch_execnz .LBB6_228
.LBB6_229:                              ;   in Loop: Header=BB6_6 Depth=2
	s_or_b64 exec, exec, s[20:21]
	s_and_b64 vcc, exec, s[14:15]
	s_cbranch_vccnz .LBB6_118
.LBB6_230:                              ;   in Loop: Header=BB6_6 Depth=2
                                        ; implicit-def: $vgpr18_vgpr19
	s_cbranch_execz .LBB6_258
; %bb.231:                              ;   in Loop: Header=BB6_6 Depth=2
	v_readfirstlane_b32 s2, v38
	v_cmp_eq_u32_e64 s[2:3], s2, v38
	v_pk_mov_b32 v[4:5], 0, 0
	s_and_saveexec_b64 s[18:19], s[2:3]
	s_cbranch_execz .LBB6_237
; %bb.232:                              ;   in Loop: Header=BB6_6 Depth=2
	global_load_dwordx2 v[20:21], v3, s[16:17] offset:24 glc
	s_waitcnt vmcnt(0)
	buffer_invl2
	buffer_wbinvl1_vol
	global_load_dwordx2 v[4:5], v3, s[16:17] offset:40
	global_load_dwordx2 v[8:9], v3, s[16:17]
	s_waitcnt vmcnt(1)
	v_and_b32_e32 v1, v4, v20
	v_and_b32_e32 v2, v5, v21
	v_mul_lo_u32 v2, v2, 24
	v_mul_hi_u32 v4, v1, 24
	v_mul_lo_u32 v1, v1, 24
	v_add_u32_e32 v2, v4, v2
	s_waitcnt vmcnt(0)
	v_add_co_u32_e32 v4, vcc, v8, v1
	v_addc_co_u32_e32 v5, vcc, v9, v2, vcc
	global_load_dwordx2 v[18:19], v[4:5], off glc
	s_waitcnt vmcnt(0)
	global_atomic_cmpswap_x2 v[4:5], v3, v[18:21], s[16:17] offset:24 glc
	s_waitcnt vmcnt(0)
	buffer_invl2
	buffer_wbinvl1_vol
	v_cmp_ne_u64_e32 vcc, v[4:5], v[20:21]
	s_and_saveexec_b64 s[20:21], vcc
	s_cbranch_execz .LBB6_236
; %bb.233:                              ;   in Loop: Header=BB6_6 Depth=2
	s_mov_b64 s[22:23], 0
.LBB6_234:                              ;   Parent Loop BB6_3 Depth=1
                                        ;     Parent Loop BB6_6 Depth=2
                                        ; =>    This Inner Loop Header: Depth=3
	s_sleep 1
	global_load_dwordx2 v[8:9], v3, s[16:17] offset:40
	global_load_dwordx2 v[12:13], v3, s[16:17]
	v_pk_mov_b32 v[20:21], v[4:5], v[4:5] op_sel:[0,1]
	s_waitcnt vmcnt(1)
	v_and_b32_e32 v2, v8, v20
	s_waitcnt vmcnt(0)
	v_mad_u64_u32 v[4:5], s[24:25], v2, 24, v[12:13]
	v_and_b32_e32 v1, v9, v21
	v_mov_b32_e32 v2, v5
	v_mad_u64_u32 v[8:9], s[24:25], v1, 24, v[2:3]
	v_mov_b32_e32 v5, v8
	global_load_dwordx2 v[18:19], v[4:5], off glc
	s_waitcnt vmcnt(0)
	global_atomic_cmpswap_x2 v[4:5], v3, v[18:21], s[16:17] offset:24 glc
	s_waitcnt vmcnt(0)
	buffer_invl2
	buffer_wbinvl1_vol
	v_cmp_eq_u64_e32 vcc, v[4:5], v[20:21]
	s_or_b64 s[22:23], vcc, s[22:23]
	s_andn2_b64 exec, exec, s[22:23]
	s_cbranch_execnz .LBB6_234
; %bb.235:                              ;   in Loop: Header=BB6_6 Depth=2
	s_or_b64 exec, exec, s[22:23]
.LBB6_236:                              ;   in Loop: Header=BB6_6 Depth=2
	s_or_b64 exec, exec, s[20:21]
.LBB6_237:                              ;   in Loop: Header=BB6_6 Depth=2
	s_or_b64 exec, exec, s[18:19]
	global_load_dwordx2 v[8:9], v3, s[16:17] offset:40
	global_load_dwordx4 v[20:23], v3, s[16:17]
	v_readfirstlane_b32 s18, v4
	v_readfirstlane_b32 s19, v5
	s_mov_b64 s[20:21], exec
	s_waitcnt vmcnt(1)
	v_readfirstlane_b32 s22, v8
	v_readfirstlane_b32 s23, v9
	s_and_b64 s[22:23], s[18:19], s[22:23]
	s_mul_i32 s24, s23, 24
	s_mul_hi_u32 s25, s22, 24
	s_mul_i32 s26, s22, 24
	s_add_i32 s24, s25, s24
	v_mov_b32_e32 v1, s24
	s_waitcnt vmcnt(0)
	v_add_co_u32_e32 v4, vcc, s26, v20
	v_addc_co_u32_e32 v5, vcc, v21, v1, vcc
	s_and_saveexec_b64 s[24:25], s[2:3]
	s_cbranch_execz .LBB6_239
; %bb.238:                              ;   in Loop: Header=BB6_6 Depth=2
	v_pk_mov_b32 v[12:13], s[20:21], s[20:21] op_sel:[0,1]
	global_store_dwordx4 v[4:5], v[12:15], off offset:8
.LBB6_239:                              ;   in Loop: Header=BB6_6 Depth=2
	s_or_b64 exec, exec, s[24:25]
	s_lshl_b64 s[20:21], s[22:23], 12
	v_mov_b32_e32 v1, s21
	v_add_co_u32_e32 v8, vcc, s20, v22
	v_addc_co_u32_e32 v1, vcc, v23, v1, vcc
	v_and_or_b32 v16, v16, s34, 32
	v_mov_b32_e32 v18, v3
	v_mov_b32_e32 v19, v3
	v_readfirstlane_b32 s20, v8
	v_readfirstlane_b32 s21, v1
	s_nop 4
	global_store_dwordx4 v39, v[16:19], s[20:21]
	s_nop 0
	v_pk_mov_b32 v[18:19], s[6:7], s[6:7] op_sel:[0,1]
	v_pk_mov_b32 v[16:17], s[4:5], s[4:5] op_sel:[0,1]
	global_store_dwordx4 v39, v[16:19], s[20:21] offset:16
	global_store_dwordx4 v39, v[16:19], s[20:21] offset:32
	;; [unrolled: 1-line block ×3, first 2 shown]
	s_and_saveexec_b64 s[20:21], s[2:3]
	s_cbranch_execz .LBB6_247
; %bb.240:                              ;   in Loop: Header=BB6_6 Depth=2
	global_load_dwordx2 v[24:25], v3, s[16:17] offset:32 glc
	global_load_dwordx2 v[12:13], v3, s[16:17] offset:40
	v_mov_b32_e32 v22, s18
	v_mov_b32_e32 v23, s19
	s_waitcnt vmcnt(0)
	v_readfirstlane_b32 s22, v12
	v_readfirstlane_b32 s23, v13
	s_and_b64 s[22:23], s[22:23], s[18:19]
	s_mul_i32 s23, s23, 24
	s_mul_hi_u32 s24, s22, 24
	s_mul_i32 s22, s22, 24
	s_add_i32 s23, s24, s23
	v_mov_b32_e32 v2, s23
	v_add_co_u32_e32 v12, vcc, s22, v20
	v_addc_co_u32_e32 v13, vcc, v21, v2, vcc
	global_store_dwordx2 v[12:13], v[24:25], off
	buffer_wbl2
	s_waitcnt vmcnt(0)
	global_atomic_cmpswap_x2 v[18:19], v3, v[22:25], s[16:17] offset:32 glc
	s_waitcnt vmcnt(0)
	v_cmp_ne_u64_e32 vcc, v[18:19], v[24:25]
	s_and_saveexec_b64 s[22:23], vcc
	s_cbranch_execz .LBB6_243
; %bb.241:                              ;   in Loop: Header=BB6_6 Depth=2
	s_mov_b64 s[24:25], 0
.LBB6_242:                              ;   Parent Loop BB6_3 Depth=1
                                        ;     Parent Loop BB6_6 Depth=2
                                        ; =>    This Inner Loop Header: Depth=3
	s_sleep 1
	global_store_dwordx2 v[12:13], v[18:19], off
	v_mov_b32_e32 v16, s18
	v_mov_b32_e32 v17, s19
	buffer_wbl2
	s_waitcnt vmcnt(0)
	global_atomic_cmpswap_x2 v[16:17], v3, v[16:19], s[16:17] offset:32 glc
	s_waitcnt vmcnt(0)
	v_cmp_eq_u64_e32 vcc, v[16:17], v[18:19]
	s_or_b64 s[24:25], vcc, s[24:25]
	v_pk_mov_b32 v[18:19], v[16:17], v[16:17] op_sel:[0,1]
	s_andn2_b64 exec, exec, s[24:25]
	s_cbranch_execnz .LBB6_242
.LBB6_243:                              ;   in Loop: Header=BB6_6 Depth=2
	s_or_b64 exec, exec, s[22:23]
	global_load_dwordx2 v[12:13], v3, s[16:17] offset:16
	s_mov_b64 s[24:25], exec
	v_mbcnt_lo_u32_b32 v2, s24, 0
	v_mbcnt_hi_u32_b32 v2, s25, v2
	v_cmp_eq_u32_e32 vcc, 0, v2
	s_and_saveexec_b64 s[22:23], vcc
	s_cbranch_execz .LBB6_245
; %bb.244:                              ;   in Loop: Header=BB6_6 Depth=2
	s_bcnt1_i32_b64 s24, s[24:25]
	v_mov_b32_e32 v2, s24
	buffer_wbl2
	s_waitcnt vmcnt(0)
	global_atomic_add_x2 v[12:13], v[2:3], off offset:8
.LBB6_245:                              ;   in Loop: Header=BB6_6 Depth=2
	s_or_b64 exec, exec, s[22:23]
	s_waitcnt vmcnt(0)
	global_load_dwordx2 v[16:17], v[12:13], off offset:16
	s_waitcnt vmcnt(0)
	v_cmp_eq_u64_e32 vcc, 0, v[16:17]
	s_cbranch_vccnz .LBB6_247
; %bb.246:                              ;   in Loop: Header=BB6_6 Depth=2
	global_load_dword v2, v[12:13], off offset:24
	buffer_wbl2
	s_waitcnt vmcnt(0)
	global_store_dwordx2 v[16:17], v[2:3], off
	v_and_b32_e32 v2, 0xffffff, v2
	v_readfirstlane_b32 m0, v2
	s_sendmsg sendmsg(MSG_INTERRUPT)
.LBB6_247:                              ;   in Loop: Header=BB6_6 Depth=2
	s_or_b64 exec, exec, s[20:21]
	v_add_co_u32_e32 v8, vcc, v8, v39
	v_addc_co_u32_e32 v9, vcc, 0, v1, vcc
	s_branch .LBB6_251
.LBB6_248:                              ;   in Loop: Header=BB6_251 Depth=3
	s_or_b64 exec, exec, s[20:21]
	v_readfirstlane_b32 s20, v1
	s_cmp_eq_u32 s20, 0
	s_cbranch_scc1 .LBB6_250
; %bb.249:                              ;   in Loop: Header=BB6_251 Depth=3
	s_sleep 1
	s_cbranch_execnz .LBB6_251
	s_branch .LBB6_253
.LBB6_250:                              ;   in Loop: Header=BB6_6 Depth=2
	s_branch .LBB6_253
.LBB6_251:                              ;   Parent Loop BB6_3 Depth=1
                                        ;     Parent Loop BB6_6 Depth=2
                                        ; =>    This Inner Loop Header: Depth=3
	v_mov_b32_e32 v1, 1
	s_and_saveexec_b64 s[20:21], s[2:3]
	s_cbranch_execz .LBB6_248
; %bb.252:                              ;   in Loop: Header=BB6_251 Depth=3
	global_load_dword v1, v[4:5], off offset:20 glc
	s_waitcnt vmcnt(0)
	buffer_invl2
	buffer_wbinvl1_vol
	v_and_b32_e32 v1, 1, v1
	s_branch .LBB6_248
.LBB6_253:                              ;   in Loop: Header=BB6_6 Depth=2
	global_load_dwordx2 v[18:19], v[8:9], off
	s_and_saveexec_b64 s[20:21], s[2:3]
	s_cbranch_execz .LBB6_257
; %bb.254:                              ;   in Loop: Header=BB6_6 Depth=2
	global_load_dwordx2 v[4:5], v3, s[16:17] offset:40
	global_load_dwordx2 v[8:9], v3, s[16:17] offset:24 glc
	global_load_dwordx2 v[12:13], v3, s[16:17]
	v_mov_b32_e32 v1, s19
	s_waitcnt vmcnt(2)
	v_add_co_u32_e32 v2, vcc, 1, v4
	v_addc_co_u32_e32 v20, vcc, 0, v5, vcc
	v_add_co_u32_e32 v16, vcc, s18, v2
	v_addc_co_u32_e32 v17, vcc, v20, v1, vcc
	v_cmp_eq_u64_e32 vcc, 0, v[16:17]
	v_cndmask_b32_e32 v21, v17, v20, vcc
	v_cndmask_b32_e32 v20, v16, v2, vcc
	v_and_b32_e32 v1, v21, v5
	v_and_b32_e32 v2, v20, v4
	v_mul_lo_u32 v1, v1, 24
	v_mul_hi_u32 v4, v2, 24
	v_mul_lo_u32 v2, v2, 24
	v_add_u32_e32 v1, v4, v1
	s_waitcnt vmcnt(0)
	v_add_co_u32_e32 v4, vcc, v12, v2
	v_addc_co_u32_e32 v5, vcc, v13, v1, vcc
	v_mov_b32_e32 v22, v8
	global_store_dwordx2 v[4:5], v[8:9], off
	v_mov_b32_e32 v23, v9
	buffer_wbl2
	s_waitcnt vmcnt(0)
	global_atomic_cmpswap_x2 v[22:23], v3, v[20:23], s[16:17] offset:24 glc
	s_waitcnt vmcnt(0)
	v_cmp_ne_u64_e32 vcc, v[22:23], v[8:9]
	s_and_b64 exec, exec, vcc
	s_cbranch_execz .LBB6_257
; %bb.255:                              ;   in Loop: Header=BB6_6 Depth=2
	s_mov_b64 s[2:3], 0
.LBB6_256:                              ;   Parent Loop BB6_3 Depth=1
                                        ;     Parent Loop BB6_6 Depth=2
                                        ; =>    This Inner Loop Header: Depth=3
	s_sleep 1
	global_store_dwordx2 v[4:5], v[22:23], off
	buffer_wbl2
	s_waitcnt vmcnt(0)
	global_atomic_cmpswap_x2 v[8:9], v3, v[20:23], s[16:17] offset:24 glc
	s_waitcnt vmcnt(0)
	v_cmp_eq_u64_e32 vcc, v[8:9], v[22:23]
	s_or_b64 s[2:3], vcc, s[2:3]
	v_pk_mov_b32 v[22:23], v[8:9], v[8:9] op_sel:[0,1]
	s_andn2_b64 exec, exec, s[2:3]
	s_cbranch_execnz .LBB6_256
.LBB6_257:                              ;   in Loop: Header=BB6_6 Depth=2
	s_or_b64 exec, exec, s[20:21]
.LBB6_258:                              ;   in Loop: Header=BB6_6 Depth=2
	v_readfirstlane_b32 s2, v38
	v_cmp_eq_u32_e64 s[2:3], s2, v38
	v_pk_mov_b32 v[4:5], 0, 0
	s_and_saveexec_b64 s[18:19], s[2:3]
	s_cbranch_execz .LBB6_264
; %bb.259:                              ;   in Loop: Header=BB6_6 Depth=2
	global_load_dwordx2 v[22:23], v3, s[16:17] offset:24 glc
	s_waitcnt vmcnt(0)
	buffer_invl2
	buffer_wbinvl1_vol
	global_load_dwordx2 v[4:5], v3, s[16:17] offset:40
	global_load_dwordx2 v[8:9], v3, s[16:17]
	s_waitcnt vmcnt(1)
	v_and_b32_e32 v1, v4, v22
	v_and_b32_e32 v2, v5, v23
	v_mul_lo_u32 v2, v2, 24
	v_mul_hi_u32 v4, v1, 24
	v_mul_lo_u32 v1, v1, 24
	v_add_u32_e32 v2, v4, v2
	s_waitcnt vmcnt(0)
	v_add_co_u32_e32 v4, vcc, v8, v1
	v_addc_co_u32_e32 v5, vcc, v9, v2, vcc
	global_load_dwordx2 v[20:21], v[4:5], off glc
	s_waitcnt vmcnt(0)
	global_atomic_cmpswap_x2 v[4:5], v3, v[20:23], s[16:17] offset:24 glc
	s_waitcnt vmcnt(0)
	buffer_invl2
	buffer_wbinvl1_vol
	v_cmp_ne_u64_e32 vcc, v[4:5], v[22:23]
	s_and_saveexec_b64 s[20:21], vcc
	s_cbranch_execz .LBB6_263
; %bb.260:                              ;   in Loop: Header=BB6_6 Depth=2
	s_mov_b64 s[22:23], 0
.LBB6_261:                              ;   Parent Loop BB6_3 Depth=1
                                        ;     Parent Loop BB6_6 Depth=2
                                        ; =>    This Inner Loop Header: Depth=3
	s_sleep 1
	global_load_dwordx2 v[8:9], v3, s[16:17] offset:40
	global_load_dwordx2 v[12:13], v3, s[16:17]
	v_pk_mov_b32 v[22:23], v[4:5], v[4:5] op_sel:[0,1]
	s_waitcnt vmcnt(1)
	v_and_b32_e32 v2, v8, v22
	s_waitcnt vmcnt(0)
	v_mad_u64_u32 v[4:5], s[24:25], v2, 24, v[12:13]
	v_and_b32_e32 v1, v9, v23
	v_mov_b32_e32 v2, v5
	v_mad_u64_u32 v[8:9], s[24:25], v1, 24, v[2:3]
	v_mov_b32_e32 v5, v8
	global_load_dwordx2 v[20:21], v[4:5], off glc
	s_waitcnt vmcnt(0)
	global_atomic_cmpswap_x2 v[4:5], v3, v[20:23], s[16:17] offset:24 glc
	s_waitcnt vmcnt(0)
	buffer_invl2
	buffer_wbinvl1_vol
	v_cmp_eq_u64_e32 vcc, v[4:5], v[22:23]
	s_or_b64 s[22:23], vcc, s[22:23]
	s_andn2_b64 exec, exec, s[22:23]
	s_cbranch_execnz .LBB6_261
; %bb.262:                              ;   in Loop: Header=BB6_6 Depth=2
	s_or_b64 exec, exec, s[22:23]
.LBB6_263:                              ;   in Loop: Header=BB6_6 Depth=2
	s_or_b64 exec, exec, s[20:21]
.LBB6_264:                              ;   in Loop: Header=BB6_6 Depth=2
	s_or_b64 exec, exec, s[18:19]
	global_load_dwordx2 v[8:9], v3, s[16:17] offset:40
	global_load_dwordx4 v[22:25], v3, s[16:17]
	v_readfirstlane_b32 s18, v4
	v_readfirstlane_b32 s19, v5
	s_mov_b64 s[20:21], exec
	s_waitcnt vmcnt(1)
	v_readfirstlane_b32 s22, v8
	v_readfirstlane_b32 s23, v9
	s_and_b64 s[22:23], s[18:19], s[22:23]
	s_mul_i32 s24, s23, 24
	s_mul_hi_u32 s25, s22, 24
	s_mul_i32 s26, s22, 24
	s_add_i32 s24, s25, s24
	v_mov_b32_e32 v1, s24
	s_waitcnt vmcnt(0)
	v_add_co_u32_e32 v4, vcc, s26, v22
	v_addc_co_u32_e32 v5, vcc, v23, v1, vcc
	s_and_saveexec_b64 s[24:25], s[2:3]
	s_cbranch_execz .LBB6_266
; %bb.265:                              ;   in Loop: Header=BB6_6 Depth=2
	v_pk_mov_b32 v[12:13], s[20:21], s[20:21] op_sel:[0,1]
	global_store_dwordx4 v[4:5], v[12:15], off offset:8
.LBB6_266:                              ;   in Loop: Header=BB6_6 Depth=2
	s_or_b64 exec, exec, s[24:25]
	s_lshl_b64 s[20:21], s[22:23], 12
	v_mov_b32_e32 v1, s21
	v_add_co_u32_e32 v8, vcc, s20, v24
	v_addc_co_u32_e32 v1, vcc, v25, v1, vcc
	v_and_or_b32 v18, v18, s34, 32
	v_mov_b32_e32 v20, s37
	v_mov_b32_e32 v21, v3
	v_readfirstlane_b32 s20, v8
	v_readfirstlane_b32 s21, v1
	s_nop 4
	global_store_dwordx4 v39, v[18:21], s[20:21]
	s_nop 0
	v_pk_mov_b32 v[18:19], s[6:7], s[6:7] op_sel:[0,1]
	v_pk_mov_b32 v[16:17], s[4:5], s[4:5] op_sel:[0,1]
	global_store_dwordx4 v39, v[16:19], s[20:21] offset:16
	global_store_dwordx4 v39, v[16:19], s[20:21] offset:32
	;; [unrolled: 1-line block ×3, first 2 shown]
	s_and_saveexec_b64 s[20:21], s[2:3]
	s_cbranch_execz .LBB6_274
; %bb.267:                              ;   in Loop: Header=BB6_6 Depth=2
	global_load_dwordx2 v[20:21], v3, s[16:17] offset:32 glc
	global_load_dwordx2 v[12:13], v3, s[16:17] offset:40
	v_mov_b32_e32 v18, s18
	v_mov_b32_e32 v19, s19
	s_waitcnt vmcnt(0)
	v_readfirstlane_b32 s22, v12
	v_readfirstlane_b32 s23, v13
	s_and_b64 s[22:23], s[22:23], s[18:19]
	s_mul_i32 s23, s23, 24
	s_mul_hi_u32 s24, s22, 24
	s_mul_i32 s22, s22, 24
	s_add_i32 s23, s24, s23
	v_mov_b32_e32 v2, s23
	v_add_co_u32_e32 v12, vcc, s22, v22
	v_addc_co_u32_e32 v13, vcc, v23, v2, vcc
	global_store_dwordx2 v[12:13], v[20:21], off
	buffer_wbl2
	s_waitcnt vmcnt(0)
	global_atomic_cmpswap_x2 v[18:19], v3, v[18:21], s[16:17] offset:32 glc
	s_waitcnt vmcnt(0)
	v_cmp_ne_u64_e32 vcc, v[18:19], v[20:21]
	s_and_saveexec_b64 s[22:23], vcc
	s_cbranch_execz .LBB6_270
; %bb.268:                              ;   in Loop: Header=BB6_6 Depth=2
	s_mov_b64 s[24:25], 0
.LBB6_269:                              ;   Parent Loop BB6_3 Depth=1
                                        ;     Parent Loop BB6_6 Depth=2
                                        ; =>    This Inner Loop Header: Depth=3
	s_sleep 1
	global_store_dwordx2 v[12:13], v[18:19], off
	v_mov_b32_e32 v16, s18
	v_mov_b32_e32 v17, s19
	buffer_wbl2
	s_waitcnt vmcnt(0)
	global_atomic_cmpswap_x2 v[16:17], v3, v[16:19], s[16:17] offset:32 glc
	s_waitcnt vmcnt(0)
	v_cmp_eq_u64_e32 vcc, v[16:17], v[18:19]
	s_or_b64 s[24:25], vcc, s[24:25]
	v_pk_mov_b32 v[18:19], v[16:17], v[16:17] op_sel:[0,1]
	s_andn2_b64 exec, exec, s[24:25]
	s_cbranch_execnz .LBB6_269
.LBB6_270:                              ;   in Loop: Header=BB6_6 Depth=2
	s_or_b64 exec, exec, s[22:23]
	global_load_dwordx2 v[12:13], v3, s[16:17] offset:16
	s_mov_b64 s[24:25], exec
	v_mbcnt_lo_u32_b32 v2, s24, 0
	v_mbcnt_hi_u32_b32 v2, s25, v2
	v_cmp_eq_u32_e32 vcc, 0, v2
	s_and_saveexec_b64 s[22:23], vcc
	s_cbranch_execz .LBB6_272
; %bb.271:                              ;   in Loop: Header=BB6_6 Depth=2
	s_bcnt1_i32_b64 s24, s[24:25]
	v_mov_b32_e32 v2, s24
	buffer_wbl2
	s_waitcnt vmcnt(0)
	global_atomic_add_x2 v[12:13], v[2:3], off offset:8
.LBB6_272:                              ;   in Loop: Header=BB6_6 Depth=2
	s_or_b64 exec, exec, s[22:23]
	s_waitcnt vmcnt(0)
	global_load_dwordx2 v[16:17], v[12:13], off offset:16
	s_waitcnt vmcnt(0)
	v_cmp_eq_u64_e32 vcc, 0, v[16:17]
	s_cbranch_vccnz .LBB6_274
; %bb.273:                              ;   in Loop: Header=BB6_6 Depth=2
	global_load_dword v2, v[12:13], off offset:24
	buffer_wbl2
	s_waitcnt vmcnt(0)
	global_store_dwordx2 v[16:17], v[2:3], off
	v_and_b32_e32 v2, 0xffffff, v2
	v_readfirstlane_b32 m0, v2
	s_sendmsg sendmsg(MSG_INTERRUPT)
.LBB6_274:                              ;   in Loop: Header=BB6_6 Depth=2
	s_or_b64 exec, exec, s[20:21]
	v_add_co_u32_e32 v8, vcc, v8, v39
	v_addc_co_u32_e32 v9, vcc, 0, v1, vcc
	s_branch .LBB6_278
.LBB6_275:                              ;   in Loop: Header=BB6_278 Depth=3
	s_or_b64 exec, exec, s[20:21]
	v_readfirstlane_b32 s20, v1
	s_cmp_eq_u32 s20, 0
	s_cbranch_scc1 .LBB6_277
; %bb.276:                              ;   in Loop: Header=BB6_278 Depth=3
	s_sleep 1
	s_cbranch_execnz .LBB6_278
	s_branch .LBB6_280
.LBB6_277:                              ;   in Loop: Header=BB6_6 Depth=2
	s_branch .LBB6_280
.LBB6_278:                              ;   Parent Loop BB6_3 Depth=1
                                        ;     Parent Loop BB6_6 Depth=2
                                        ; =>    This Inner Loop Header: Depth=3
	v_mov_b32_e32 v1, 1
	s_and_saveexec_b64 s[20:21], s[2:3]
	s_cbranch_execz .LBB6_275
; %bb.279:                              ;   in Loop: Header=BB6_278 Depth=3
	global_load_dword v1, v[4:5], off offset:20 glc
	s_waitcnt vmcnt(0)
	buffer_invl2
	buffer_wbinvl1_vol
	v_and_b32_e32 v1, 1, v1
	s_branch .LBB6_275
.LBB6_280:                              ;   in Loop: Header=BB6_6 Depth=2
	global_load_dwordx2 v[4:5], v[8:9], off
	s_and_saveexec_b64 s[20:21], s[2:3]
	s_cbranch_execz .LBB6_284
; %bb.281:                              ;   in Loop: Header=BB6_6 Depth=2
	global_load_dwordx2 v[8:9], v3, s[16:17] offset:40
	global_load_dwordx2 v[12:13], v3, s[16:17] offset:24 glc
	global_load_dwordx2 v[20:21], v3, s[16:17]
	v_mov_b32_e32 v1, s19
	s_waitcnt vmcnt(2)
	v_add_co_u32_e32 v2, vcc, 1, v8
	v_addc_co_u32_e32 v19, vcc, 0, v9, vcc
	v_add_co_u32_e32 v16, vcc, s18, v2
	v_addc_co_u32_e32 v17, vcc, v19, v1, vcc
	v_cmp_eq_u64_e32 vcc, 0, v[16:17]
	v_cndmask_b32_e32 v17, v17, v19, vcc
	v_cndmask_b32_e32 v16, v16, v2, vcc
	v_and_b32_e32 v1, v17, v9
	v_and_b32_e32 v2, v16, v8
	v_mul_lo_u32 v1, v1, 24
	v_mul_hi_u32 v8, v2, 24
	v_mul_lo_u32 v2, v2, 24
	v_add_u32_e32 v1, v8, v1
	s_waitcnt vmcnt(0)
	v_add_co_u32_e32 v8, vcc, v20, v2
	v_addc_co_u32_e32 v9, vcc, v21, v1, vcc
	v_mov_b32_e32 v18, v12
	global_store_dwordx2 v[8:9], v[12:13], off
	v_mov_b32_e32 v19, v13
	buffer_wbl2
	s_waitcnt vmcnt(0)
	global_atomic_cmpswap_x2 v[18:19], v3, v[16:19], s[16:17] offset:24 glc
	s_waitcnt vmcnt(0)
	v_cmp_ne_u64_e32 vcc, v[18:19], v[12:13]
	s_and_b64 exec, exec, vcc
	s_cbranch_execz .LBB6_284
; %bb.282:                              ;   in Loop: Header=BB6_6 Depth=2
	s_mov_b64 s[2:3], 0
.LBB6_283:                              ;   Parent Loop BB6_3 Depth=1
                                        ;     Parent Loop BB6_6 Depth=2
                                        ; =>    This Inner Loop Header: Depth=3
	s_sleep 1
	global_store_dwordx2 v[8:9], v[18:19], off
	buffer_wbl2
	s_waitcnt vmcnt(0)
	global_atomic_cmpswap_x2 v[12:13], v3, v[16:19], s[16:17] offset:24 glc
	s_waitcnt vmcnt(0)
	v_cmp_eq_u64_e32 vcc, v[12:13], v[18:19]
	s_or_b64 s[2:3], vcc, s[2:3]
	v_pk_mov_b32 v[18:19], v[12:13], v[12:13] op_sel:[0,1]
	s_andn2_b64 exec, exec, s[2:3]
	s_cbranch_execnz .LBB6_283
.LBB6_284:                              ;   in Loop: Header=BB6_6 Depth=2
	s_or_b64 exec, exec, s[20:21]
	v_readfirstlane_b32 s2, v38
	v_cmp_eq_u32_e64 s[2:3], s2, v38
	v_pk_mov_b32 v[8:9], 0, 0
	s_and_saveexec_b64 s[18:19], s[2:3]
	s_cbranch_execz .LBB6_290
; %bb.285:                              ;   in Loop: Header=BB6_6 Depth=2
	global_load_dwordx2 v[18:19], v3, s[16:17] offset:24 glc
	s_waitcnt vmcnt(0)
	buffer_invl2
	buffer_wbinvl1_vol
	global_load_dwordx2 v[8:9], v3, s[16:17] offset:40
	global_load_dwordx2 v[12:13], v3, s[16:17]
	s_waitcnt vmcnt(1)
	v_and_b32_e32 v1, v8, v18
	v_and_b32_e32 v2, v9, v19
	v_mul_lo_u32 v2, v2, 24
	v_mul_hi_u32 v8, v1, 24
	v_mul_lo_u32 v1, v1, 24
	v_add_u32_e32 v2, v8, v2
	s_waitcnt vmcnt(0)
	v_add_co_u32_e32 v8, vcc, v12, v1
	v_addc_co_u32_e32 v9, vcc, v13, v2, vcc
	global_load_dwordx2 v[16:17], v[8:9], off glc
	s_waitcnt vmcnt(0)
	global_atomic_cmpswap_x2 v[8:9], v3, v[16:19], s[16:17] offset:24 glc
	s_waitcnt vmcnt(0)
	buffer_invl2
	buffer_wbinvl1_vol
	v_cmp_ne_u64_e32 vcc, v[8:9], v[18:19]
	s_and_saveexec_b64 s[20:21], vcc
	s_cbranch_execz .LBB6_289
; %bb.286:                              ;   in Loop: Header=BB6_6 Depth=2
	s_mov_b64 s[22:23], 0
.LBB6_287:                              ;   Parent Loop BB6_3 Depth=1
                                        ;     Parent Loop BB6_6 Depth=2
                                        ; =>    This Inner Loop Header: Depth=3
	s_sleep 1
	global_load_dwordx2 v[12:13], v3, s[16:17] offset:40
	global_load_dwordx2 v[16:17], v3, s[16:17]
	v_pk_mov_b32 v[18:19], v[8:9], v[8:9] op_sel:[0,1]
	s_waitcnt vmcnt(1)
	v_and_b32_e32 v2, v12, v18
	s_waitcnt vmcnt(0)
	v_mad_u64_u32 v[8:9], s[24:25], v2, 24, v[16:17]
	v_and_b32_e32 v1, v13, v19
	v_mov_b32_e32 v2, v9
	v_mad_u64_u32 v[12:13], s[24:25], v1, 24, v[2:3]
	v_mov_b32_e32 v9, v12
	global_load_dwordx2 v[16:17], v[8:9], off glc
	s_waitcnt vmcnt(0)
	global_atomic_cmpswap_x2 v[8:9], v3, v[16:19], s[16:17] offset:24 glc
	s_waitcnt vmcnt(0)
	buffer_invl2
	buffer_wbinvl1_vol
	v_cmp_eq_u64_e32 vcc, v[8:9], v[18:19]
	s_or_b64 s[22:23], vcc, s[22:23]
	s_andn2_b64 exec, exec, s[22:23]
	s_cbranch_execnz .LBB6_287
; %bb.288:                              ;   in Loop: Header=BB6_6 Depth=2
	s_or_b64 exec, exec, s[22:23]
.LBB6_289:                              ;   in Loop: Header=BB6_6 Depth=2
	s_or_b64 exec, exec, s[20:21]
.LBB6_290:                              ;   in Loop: Header=BB6_6 Depth=2
	s_or_b64 exec, exec, s[18:19]
	global_load_dwordx2 v[12:13], v3, s[16:17] offset:40
	global_load_dwordx4 v[16:19], v3, s[16:17]
	v_readfirstlane_b32 s18, v8
	v_readfirstlane_b32 s19, v9
	s_mov_b64 s[20:21], exec
	s_waitcnt vmcnt(1)
	v_readfirstlane_b32 s22, v12
	v_readfirstlane_b32 s23, v13
	s_and_b64 s[22:23], s[18:19], s[22:23]
	s_mul_i32 s24, s23, 24
	s_mul_hi_u32 s25, s22, 24
	s_mul_i32 s26, s22, 24
	s_add_i32 s24, s25, s24
	v_mov_b32_e32 v1, s24
	s_waitcnt vmcnt(0)
	v_add_co_u32_e32 v8, vcc, s26, v16
	v_addc_co_u32_e32 v9, vcc, v17, v1, vcc
	s_and_saveexec_b64 s[24:25], s[2:3]
	s_cbranch_execz .LBB6_292
; %bb.291:                              ;   in Loop: Header=BB6_6 Depth=2
	v_pk_mov_b32 v[12:13], s[20:21], s[20:21] op_sel:[0,1]
	global_store_dwordx4 v[8:9], v[12:15], off offset:8
.LBB6_292:                              ;   in Loop: Header=BB6_6 Depth=2
	s_or_b64 exec, exec, s[24:25]
	s_lshl_b64 s[20:21], s[22:23], 12
	v_mov_b32_e32 v1, s21
	v_add_co_u32_e32 v12, vcc, s20, v18
	v_addc_co_u32_e32 v1, vcc, v19, v1, vcc
	v_pk_mov_b32 v[20:21], s[6:7], s[6:7] op_sel:[0,1]
	v_and_or_b32 v4, v4, s34, 32
	v_readfirstlane_b32 s20, v12
	v_readfirstlane_b32 s21, v1
	v_pk_mov_b32 v[18:19], s[4:5], s[4:5] op_sel:[0,1]
	s_nop 3
	global_store_dwordx4 v39, v[4:7], s[20:21]
	global_store_dwordx4 v39, v[18:21], s[20:21] offset:16
	global_store_dwordx4 v39, v[18:21], s[20:21] offset:32
	;; [unrolled: 1-line block ×3, first 2 shown]
	s_and_saveexec_b64 s[20:21], s[2:3]
	s_cbranch_execz .LBB6_300
; %bb.293:                              ;   in Loop: Header=BB6_6 Depth=2
	global_load_dwordx2 v[20:21], v3, s[16:17] offset:32 glc
	global_load_dwordx2 v[4:5], v3, s[16:17] offset:40
	v_mov_b32_e32 v18, s18
	v_mov_b32_e32 v19, s19
	s_waitcnt vmcnt(0)
	v_readfirstlane_b32 s22, v4
	v_readfirstlane_b32 s23, v5
	s_and_b64 s[22:23], s[22:23], s[18:19]
	s_mul_i32 s23, s23, 24
	s_mul_hi_u32 s24, s22, 24
	s_mul_i32 s22, s22, 24
	s_add_i32 s23, s24, s23
	v_mov_b32_e32 v2, s23
	v_add_co_u32_e32 v4, vcc, s22, v16
	v_addc_co_u32_e32 v5, vcc, v17, v2, vcc
	global_store_dwordx2 v[4:5], v[20:21], off
	buffer_wbl2
	s_waitcnt vmcnt(0)
	global_atomic_cmpswap_x2 v[18:19], v3, v[18:21], s[16:17] offset:32 glc
	s_waitcnt vmcnt(0)
	v_cmp_ne_u64_e32 vcc, v[18:19], v[20:21]
	s_and_saveexec_b64 s[22:23], vcc
	s_cbranch_execz .LBB6_296
; %bb.294:                              ;   in Loop: Header=BB6_6 Depth=2
	s_mov_b64 s[24:25], 0
.LBB6_295:                              ;   Parent Loop BB6_3 Depth=1
                                        ;     Parent Loop BB6_6 Depth=2
                                        ; =>    This Inner Loop Header: Depth=3
	s_sleep 1
	global_store_dwordx2 v[4:5], v[18:19], off
	v_mov_b32_e32 v16, s18
	v_mov_b32_e32 v17, s19
	buffer_wbl2
	s_waitcnt vmcnt(0)
	global_atomic_cmpswap_x2 v[16:17], v3, v[16:19], s[16:17] offset:32 glc
	s_waitcnt vmcnt(0)
	v_cmp_eq_u64_e32 vcc, v[16:17], v[18:19]
	s_or_b64 s[24:25], vcc, s[24:25]
	v_pk_mov_b32 v[18:19], v[16:17], v[16:17] op_sel:[0,1]
	s_andn2_b64 exec, exec, s[24:25]
	s_cbranch_execnz .LBB6_295
.LBB6_296:                              ;   in Loop: Header=BB6_6 Depth=2
	s_or_b64 exec, exec, s[22:23]
	global_load_dwordx2 v[4:5], v3, s[16:17] offset:16
	s_mov_b64 s[24:25], exec
	v_mbcnt_lo_u32_b32 v2, s24, 0
	v_mbcnt_hi_u32_b32 v2, s25, v2
	v_cmp_eq_u32_e32 vcc, 0, v2
	s_and_saveexec_b64 s[22:23], vcc
	s_cbranch_execz .LBB6_298
; %bb.297:                              ;   in Loop: Header=BB6_6 Depth=2
	s_bcnt1_i32_b64 s24, s[24:25]
	v_mov_b32_e32 v2, s24
	buffer_wbl2
	s_waitcnt vmcnt(0)
	global_atomic_add_x2 v[4:5], v[2:3], off offset:8
.LBB6_298:                              ;   in Loop: Header=BB6_6 Depth=2
	s_or_b64 exec, exec, s[22:23]
	s_waitcnt vmcnt(0)
	global_load_dwordx2 v[16:17], v[4:5], off offset:16
	s_waitcnt vmcnt(0)
	v_cmp_eq_u64_e32 vcc, 0, v[16:17]
	s_cbranch_vccnz .LBB6_300
; %bb.299:                              ;   in Loop: Header=BB6_6 Depth=2
	global_load_dword v2, v[4:5], off offset:24
	buffer_wbl2
	s_waitcnt vmcnt(0)
	global_store_dwordx2 v[16:17], v[2:3], off
	v_and_b32_e32 v2, 0xffffff, v2
	v_readfirstlane_b32 m0, v2
	s_sendmsg sendmsg(MSG_INTERRUPT)
.LBB6_300:                              ;   in Loop: Header=BB6_6 Depth=2
	s_or_b64 exec, exec, s[20:21]
	v_add_co_u32_e32 v4, vcc, v12, v39
	v_addc_co_u32_e32 v5, vcc, 0, v1, vcc
	s_branch .LBB6_304
.LBB6_301:                              ;   in Loop: Header=BB6_304 Depth=3
	s_or_b64 exec, exec, s[20:21]
	v_readfirstlane_b32 s20, v1
	s_cmp_eq_u32 s20, 0
	s_cbranch_scc1 .LBB6_303
; %bb.302:                              ;   in Loop: Header=BB6_304 Depth=3
	s_sleep 1
	s_cbranch_execnz .LBB6_304
	s_branch .LBB6_306
.LBB6_303:                              ;   in Loop: Header=BB6_6 Depth=2
	s_branch .LBB6_306
.LBB6_304:                              ;   Parent Loop BB6_3 Depth=1
                                        ;     Parent Loop BB6_6 Depth=2
                                        ; =>    This Inner Loop Header: Depth=3
	v_mov_b32_e32 v1, 1
	s_and_saveexec_b64 s[20:21], s[2:3]
	s_cbranch_execz .LBB6_301
; %bb.305:                              ;   in Loop: Header=BB6_304 Depth=3
	global_load_dword v1, v[8:9], off offset:20 glc
	s_waitcnt vmcnt(0)
	buffer_invl2
	buffer_wbinvl1_vol
	v_and_b32_e32 v1, 1, v1
	s_branch .LBB6_301
.LBB6_306:                              ;   in Loop: Header=BB6_6 Depth=2
	global_load_dwordx2 v[16:17], v[4:5], off
	s_and_saveexec_b64 s[20:21], s[2:3]
	s_cbranch_execz .LBB6_310
; %bb.307:                              ;   in Loop: Header=BB6_6 Depth=2
	global_load_dwordx2 v[4:5], v3, s[16:17] offset:40
	global_load_dwordx2 v[8:9], v3, s[16:17] offset:24 glc
	global_load_dwordx2 v[12:13], v3, s[16:17]
	v_mov_b32_e32 v1, s19
	s_waitcnt vmcnt(2)
	v_add_co_u32_e32 v2, vcc, 1, v4
	v_addc_co_u32_e32 v21, vcc, 0, v5, vcc
	v_add_co_u32_e32 v18, vcc, s18, v2
	v_addc_co_u32_e32 v19, vcc, v21, v1, vcc
	v_cmp_eq_u64_e32 vcc, 0, v[18:19]
	v_cndmask_b32_e32 v19, v19, v21, vcc
	v_cndmask_b32_e32 v18, v18, v2, vcc
	v_and_b32_e32 v1, v19, v5
	v_and_b32_e32 v2, v18, v4
	v_mul_lo_u32 v1, v1, 24
	v_mul_hi_u32 v4, v2, 24
	v_mul_lo_u32 v2, v2, 24
	v_add_u32_e32 v1, v4, v1
	s_waitcnt vmcnt(0)
	v_add_co_u32_e32 v4, vcc, v12, v2
	v_addc_co_u32_e32 v5, vcc, v13, v1, vcc
	v_mov_b32_e32 v20, v8
	global_store_dwordx2 v[4:5], v[8:9], off
	v_mov_b32_e32 v21, v9
	buffer_wbl2
	s_waitcnt vmcnt(0)
	global_atomic_cmpswap_x2 v[20:21], v3, v[18:21], s[16:17] offset:24 glc
	s_waitcnt vmcnt(0)
	v_cmp_ne_u64_e32 vcc, v[20:21], v[8:9]
	s_and_b64 exec, exec, vcc
	s_cbranch_execz .LBB6_310
; %bb.308:                              ;   in Loop: Header=BB6_6 Depth=2
	s_mov_b64 s[2:3], 0
.LBB6_309:                              ;   Parent Loop BB6_3 Depth=1
                                        ;     Parent Loop BB6_6 Depth=2
                                        ; =>    This Inner Loop Header: Depth=3
	s_sleep 1
	global_store_dwordx2 v[4:5], v[20:21], off
	buffer_wbl2
	s_waitcnt vmcnt(0)
	global_atomic_cmpswap_x2 v[8:9], v3, v[18:21], s[16:17] offset:24 glc
	s_waitcnt vmcnt(0)
	v_cmp_eq_u64_e32 vcc, v[8:9], v[20:21]
	s_or_b64 s[2:3], vcc, s[2:3]
	v_pk_mov_b32 v[20:21], v[8:9], v[8:9] op_sel:[0,1]
	s_andn2_b64 exec, exec, s[2:3]
	s_cbranch_execnz .LBB6_309
.LBB6_310:                              ;   in Loop: Header=BB6_6 Depth=2
	s_or_b64 exec, exec, s[20:21]
	v_readfirstlane_b32 s2, v38
	v_cmp_eq_u32_e64 s[2:3], s2, v38
	v_pk_mov_b32 v[4:5], 0, 0
	s_and_saveexec_b64 s[18:19], s[2:3]
	s_cbranch_execz .LBB6_316
; %bb.311:                              ;   in Loop: Header=BB6_6 Depth=2
	global_load_dwordx2 v[20:21], v3, s[16:17] offset:24 glc
	s_waitcnt vmcnt(0)
	buffer_invl2
	buffer_wbinvl1_vol
	global_load_dwordx2 v[4:5], v3, s[16:17] offset:40
	global_load_dwordx2 v[8:9], v3, s[16:17]
	s_waitcnt vmcnt(1)
	v_and_b32_e32 v1, v4, v20
	v_and_b32_e32 v2, v5, v21
	v_mul_lo_u32 v2, v2, 24
	v_mul_hi_u32 v4, v1, 24
	v_mul_lo_u32 v1, v1, 24
	v_add_u32_e32 v2, v4, v2
	s_waitcnt vmcnt(0)
	v_add_co_u32_e32 v4, vcc, v8, v1
	v_addc_co_u32_e32 v5, vcc, v9, v2, vcc
	global_load_dwordx2 v[18:19], v[4:5], off glc
	s_waitcnt vmcnt(0)
	global_atomic_cmpswap_x2 v[4:5], v3, v[18:21], s[16:17] offset:24 glc
	s_waitcnt vmcnt(0)
	buffer_invl2
	buffer_wbinvl1_vol
	v_cmp_ne_u64_e32 vcc, v[4:5], v[20:21]
	s_and_saveexec_b64 s[20:21], vcc
	s_cbranch_execz .LBB6_315
; %bb.312:                              ;   in Loop: Header=BB6_6 Depth=2
	s_mov_b64 s[22:23], 0
.LBB6_313:                              ;   Parent Loop BB6_3 Depth=1
                                        ;     Parent Loop BB6_6 Depth=2
                                        ; =>    This Inner Loop Header: Depth=3
	s_sleep 1
	global_load_dwordx2 v[8:9], v3, s[16:17] offset:40
	global_load_dwordx2 v[12:13], v3, s[16:17]
	v_pk_mov_b32 v[20:21], v[4:5], v[4:5] op_sel:[0,1]
	s_waitcnt vmcnt(1)
	v_and_b32_e32 v2, v8, v20
	s_waitcnt vmcnt(0)
	v_mad_u64_u32 v[4:5], s[24:25], v2, 24, v[12:13]
	v_and_b32_e32 v1, v9, v21
	v_mov_b32_e32 v2, v5
	v_mad_u64_u32 v[8:9], s[24:25], v1, 24, v[2:3]
	v_mov_b32_e32 v5, v8
	global_load_dwordx2 v[18:19], v[4:5], off glc
	s_waitcnt vmcnt(0)
	global_atomic_cmpswap_x2 v[4:5], v3, v[18:21], s[16:17] offset:24 glc
	s_waitcnt vmcnt(0)
	buffer_invl2
	buffer_wbinvl1_vol
	v_cmp_eq_u64_e32 vcc, v[4:5], v[20:21]
	s_or_b64 s[22:23], vcc, s[22:23]
	s_andn2_b64 exec, exec, s[22:23]
	s_cbranch_execnz .LBB6_313
; %bb.314:                              ;   in Loop: Header=BB6_6 Depth=2
	s_or_b64 exec, exec, s[22:23]
.LBB6_315:                              ;   in Loop: Header=BB6_6 Depth=2
	s_or_b64 exec, exec, s[20:21]
.LBB6_316:                              ;   in Loop: Header=BB6_6 Depth=2
	s_or_b64 exec, exec, s[18:19]
	global_load_dwordx2 v[8:9], v3, s[16:17] offset:40
	global_load_dwordx4 v[20:23], v3, s[16:17]
	v_readfirstlane_b32 s18, v4
	v_readfirstlane_b32 s19, v5
	s_mov_b64 s[20:21], exec
	s_waitcnt vmcnt(1)
	v_readfirstlane_b32 s22, v8
	v_readfirstlane_b32 s23, v9
	s_and_b64 s[22:23], s[18:19], s[22:23]
	s_mul_i32 s24, s23, 24
	s_mul_hi_u32 s25, s22, 24
	s_mul_i32 s26, s22, 24
	s_add_i32 s24, s25, s24
	v_mov_b32_e32 v1, s24
	s_waitcnt vmcnt(0)
	v_add_co_u32_e32 v4, vcc, s26, v20
	v_addc_co_u32_e32 v5, vcc, v21, v1, vcc
	s_and_saveexec_b64 s[24:25], s[2:3]
	s_cbranch_execz .LBB6_318
; %bb.317:                              ;   in Loop: Header=BB6_6 Depth=2
	v_pk_mov_b32 v[12:13], s[20:21], s[20:21] op_sel:[0,1]
	global_store_dwordx4 v[4:5], v[12:15], off offset:8
.LBB6_318:                              ;   in Loop: Header=BB6_6 Depth=2
	s_or_b64 exec, exec, s[24:25]
	s_lshl_b64 s[20:21], s[22:23], 12
	v_mov_b32_e32 v1, s21
	v_add_co_u32_e32 v8, vcc, s20, v22
	v_addc_co_u32_e32 v1, vcc, v23, v1, vcc
	v_and_or_b32 v16, v16, s34, 32
	v_mov_b32_e32 v18, s37
	v_mov_b32_e32 v19, s33
	v_readfirstlane_b32 s20, v8
	v_readfirstlane_b32 s21, v1
	s_nop 4
	global_store_dwordx4 v39, v[16:19], s[20:21]
	s_nop 0
	v_pk_mov_b32 v[18:19], s[6:7], s[6:7] op_sel:[0,1]
	v_pk_mov_b32 v[16:17], s[4:5], s[4:5] op_sel:[0,1]
	global_store_dwordx4 v39, v[16:19], s[20:21] offset:16
	global_store_dwordx4 v39, v[16:19], s[20:21] offset:32
	;; [unrolled: 1-line block ×3, first 2 shown]
	s_and_saveexec_b64 s[20:21], s[2:3]
	s_cbranch_execz .LBB6_326
; %bb.319:                              ;   in Loop: Header=BB6_6 Depth=2
	global_load_dwordx2 v[24:25], v3, s[16:17] offset:32 glc
	global_load_dwordx2 v[12:13], v3, s[16:17] offset:40
	v_mov_b32_e32 v22, s18
	v_mov_b32_e32 v23, s19
	s_waitcnt vmcnt(0)
	v_readfirstlane_b32 s22, v12
	v_readfirstlane_b32 s23, v13
	s_and_b64 s[22:23], s[22:23], s[18:19]
	s_mul_i32 s23, s23, 24
	s_mul_hi_u32 s24, s22, 24
	s_mul_i32 s22, s22, 24
	s_add_i32 s23, s24, s23
	v_mov_b32_e32 v2, s23
	v_add_co_u32_e32 v12, vcc, s22, v20
	v_addc_co_u32_e32 v13, vcc, v21, v2, vcc
	global_store_dwordx2 v[12:13], v[24:25], off
	buffer_wbl2
	s_waitcnt vmcnt(0)
	global_atomic_cmpswap_x2 v[18:19], v3, v[22:25], s[16:17] offset:32 glc
	s_waitcnt vmcnt(0)
	v_cmp_ne_u64_e32 vcc, v[18:19], v[24:25]
	s_and_saveexec_b64 s[22:23], vcc
	s_cbranch_execz .LBB6_322
; %bb.320:                              ;   in Loop: Header=BB6_6 Depth=2
	s_mov_b64 s[24:25], 0
.LBB6_321:                              ;   Parent Loop BB6_3 Depth=1
                                        ;     Parent Loop BB6_6 Depth=2
                                        ; =>    This Inner Loop Header: Depth=3
	s_sleep 1
	global_store_dwordx2 v[12:13], v[18:19], off
	v_mov_b32_e32 v16, s18
	v_mov_b32_e32 v17, s19
	buffer_wbl2
	s_waitcnt vmcnt(0)
	global_atomic_cmpswap_x2 v[16:17], v3, v[16:19], s[16:17] offset:32 glc
	s_waitcnt vmcnt(0)
	v_cmp_eq_u64_e32 vcc, v[16:17], v[18:19]
	s_or_b64 s[24:25], vcc, s[24:25]
	v_pk_mov_b32 v[18:19], v[16:17], v[16:17] op_sel:[0,1]
	s_andn2_b64 exec, exec, s[24:25]
	s_cbranch_execnz .LBB6_321
.LBB6_322:                              ;   in Loop: Header=BB6_6 Depth=2
	s_or_b64 exec, exec, s[22:23]
	global_load_dwordx2 v[12:13], v3, s[16:17] offset:16
	s_mov_b64 s[24:25], exec
	v_mbcnt_lo_u32_b32 v2, s24, 0
	v_mbcnt_hi_u32_b32 v2, s25, v2
	v_cmp_eq_u32_e32 vcc, 0, v2
	s_and_saveexec_b64 s[22:23], vcc
	s_cbranch_execz .LBB6_324
; %bb.323:                              ;   in Loop: Header=BB6_6 Depth=2
	s_bcnt1_i32_b64 s24, s[24:25]
	v_mov_b32_e32 v2, s24
	buffer_wbl2
	s_waitcnt vmcnt(0)
	global_atomic_add_x2 v[12:13], v[2:3], off offset:8
.LBB6_324:                              ;   in Loop: Header=BB6_6 Depth=2
	s_or_b64 exec, exec, s[22:23]
	s_waitcnt vmcnt(0)
	global_load_dwordx2 v[16:17], v[12:13], off offset:16
	s_waitcnt vmcnt(0)
	v_cmp_eq_u64_e32 vcc, 0, v[16:17]
	s_cbranch_vccnz .LBB6_326
; %bb.325:                              ;   in Loop: Header=BB6_6 Depth=2
	global_load_dword v2, v[12:13], off offset:24
	buffer_wbl2
	s_waitcnt vmcnt(0)
	global_store_dwordx2 v[16:17], v[2:3], off
	v_and_b32_e32 v2, 0xffffff, v2
	v_readfirstlane_b32 m0, v2
	s_sendmsg sendmsg(MSG_INTERRUPT)
.LBB6_326:                              ;   in Loop: Header=BB6_6 Depth=2
	s_or_b64 exec, exec, s[20:21]
	v_add_co_u32_e32 v8, vcc, v8, v39
	v_addc_co_u32_e32 v9, vcc, 0, v1, vcc
	s_branch .LBB6_330
.LBB6_327:                              ;   in Loop: Header=BB6_330 Depth=3
	s_or_b64 exec, exec, s[20:21]
	v_readfirstlane_b32 s20, v1
	s_cmp_eq_u32 s20, 0
	s_cbranch_scc1 .LBB6_329
; %bb.328:                              ;   in Loop: Header=BB6_330 Depth=3
	s_sleep 1
	s_cbranch_execnz .LBB6_330
	s_branch .LBB6_332
.LBB6_329:                              ;   in Loop: Header=BB6_6 Depth=2
	s_branch .LBB6_332
.LBB6_330:                              ;   Parent Loop BB6_3 Depth=1
                                        ;     Parent Loop BB6_6 Depth=2
                                        ; =>    This Inner Loop Header: Depth=3
	v_mov_b32_e32 v1, 1
	s_and_saveexec_b64 s[20:21], s[2:3]
	s_cbranch_execz .LBB6_327
; %bb.331:                              ;   in Loop: Header=BB6_330 Depth=3
	global_load_dword v1, v[4:5], off offset:20 glc
	s_waitcnt vmcnt(0)
	buffer_invl2
	buffer_wbinvl1_vol
	v_and_b32_e32 v1, 1, v1
	s_branch .LBB6_327
.LBB6_332:                              ;   in Loop: Header=BB6_6 Depth=2
	global_load_dwordx2 v[8:9], v[8:9], off
	s_and_saveexec_b64 s[20:21], s[2:3]
	s_cbranch_execz .LBB6_336
; %bb.333:                              ;   in Loop: Header=BB6_6 Depth=2
	global_load_dwordx2 v[4:5], v3, s[16:17] offset:40
	global_load_dwordx2 v[12:13], v3, s[16:17] offset:24 glc
	global_load_dwordx2 v[20:21], v3, s[16:17]
	v_mov_b32_e32 v1, s19
	s_waitcnt vmcnt(2)
	v_add_co_u32_e32 v2, vcc, 1, v4
	v_addc_co_u32_e32 v19, vcc, 0, v5, vcc
	v_add_co_u32_e32 v16, vcc, s18, v2
	v_addc_co_u32_e32 v17, vcc, v19, v1, vcc
	v_cmp_eq_u64_e32 vcc, 0, v[16:17]
	v_cndmask_b32_e32 v17, v17, v19, vcc
	v_cndmask_b32_e32 v16, v16, v2, vcc
	v_and_b32_e32 v1, v17, v5
	v_and_b32_e32 v2, v16, v4
	v_mul_lo_u32 v1, v1, 24
	v_mul_hi_u32 v4, v2, 24
	v_mul_lo_u32 v2, v2, 24
	v_add_u32_e32 v1, v4, v1
	s_waitcnt vmcnt(0)
	v_add_co_u32_e32 v4, vcc, v20, v2
	v_addc_co_u32_e32 v5, vcc, v21, v1, vcc
	v_mov_b32_e32 v18, v12
	global_store_dwordx2 v[4:5], v[12:13], off
	v_mov_b32_e32 v19, v13
	buffer_wbl2
	s_waitcnt vmcnt(0)
	global_atomic_cmpswap_x2 v[18:19], v3, v[16:19], s[16:17] offset:24 glc
	s_waitcnt vmcnt(0)
	v_cmp_ne_u64_e32 vcc, v[18:19], v[12:13]
	s_and_b64 exec, exec, vcc
	s_cbranch_execz .LBB6_336
; %bb.334:                              ;   in Loop: Header=BB6_6 Depth=2
	s_mov_b64 s[2:3], 0
.LBB6_335:                              ;   Parent Loop BB6_3 Depth=1
                                        ;     Parent Loop BB6_6 Depth=2
                                        ; =>    This Inner Loop Header: Depth=3
	s_sleep 1
	global_store_dwordx2 v[4:5], v[18:19], off
	buffer_wbl2
	s_waitcnt vmcnt(0)
	global_atomic_cmpswap_x2 v[12:13], v3, v[16:19], s[16:17] offset:24 glc
	s_waitcnt vmcnt(0)
	v_cmp_eq_u64_e32 vcc, v[12:13], v[18:19]
	s_or_b64 s[2:3], vcc, s[2:3]
	v_pk_mov_b32 v[18:19], v[12:13], v[12:13] op_sel:[0,1]
	s_andn2_b64 exec, exec, s[2:3]
	s_cbranch_execnz .LBB6_335
.LBB6_336:                              ;   in Loop: Header=BB6_6 Depth=2
	s_or_b64 exec, exec, s[20:21]
	v_readfirstlane_b32 s2, v38
	v_cmp_eq_u32_e64 s[2:3], s2, v38
	v_pk_mov_b32 v[4:5], 0, 0
	s_and_saveexec_b64 s[18:19], s[2:3]
	s_cbranch_execz .LBB6_342
; %bb.337:                              ;   in Loop: Header=BB6_6 Depth=2
	global_load_dwordx2 v[18:19], v3, s[16:17] offset:24 glc
	s_waitcnt vmcnt(0)
	buffer_invl2
	buffer_wbinvl1_vol
	global_load_dwordx2 v[4:5], v3, s[16:17] offset:40
	global_load_dwordx2 v[12:13], v3, s[16:17]
	s_waitcnt vmcnt(1)
	v_and_b32_e32 v1, v4, v18
	v_and_b32_e32 v2, v5, v19
	v_mul_lo_u32 v2, v2, 24
	v_mul_hi_u32 v4, v1, 24
	v_mul_lo_u32 v1, v1, 24
	v_add_u32_e32 v2, v4, v2
	s_waitcnt vmcnt(0)
	v_add_co_u32_e32 v4, vcc, v12, v1
	v_addc_co_u32_e32 v5, vcc, v13, v2, vcc
	global_load_dwordx2 v[16:17], v[4:5], off glc
	s_waitcnt vmcnt(0)
	global_atomic_cmpswap_x2 v[4:5], v3, v[16:19], s[16:17] offset:24 glc
	s_waitcnt vmcnt(0)
	buffer_invl2
	buffer_wbinvl1_vol
	v_cmp_ne_u64_e32 vcc, v[4:5], v[18:19]
	s_and_saveexec_b64 s[20:21], vcc
	s_cbranch_execz .LBB6_341
; %bb.338:                              ;   in Loop: Header=BB6_6 Depth=2
	s_mov_b64 s[22:23], 0
.LBB6_339:                              ;   Parent Loop BB6_3 Depth=1
                                        ;     Parent Loop BB6_6 Depth=2
                                        ; =>    This Inner Loop Header: Depth=3
	s_sleep 1
	global_load_dwordx2 v[12:13], v3, s[16:17] offset:40
	global_load_dwordx2 v[16:17], v3, s[16:17]
	v_pk_mov_b32 v[18:19], v[4:5], v[4:5] op_sel:[0,1]
	s_waitcnt vmcnt(1)
	v_and_b32_e32 v2, v12, v18
	s_waitcnt vmcnt(0)
	v_mad_u64_u32 v[4:5], s[24:25], v2, 24, v[16:17]
	v_and_b32_e32 v1, v13, v19
	v_mov_b32_e32 v2, v5
	v_mad_u64_u32 v[12:13], s[24:25], v1, 24, v[2:3]
	v_mov_b32_e32 v5, v12
	global_load_dwordx2 v[16:17], v[4:5], off glc
	s_waitcnt vmcnt(0)
	global_atomic_cmpswap_x2 v[4:5], v3, v[16:19], s[16:17] offset:24 glc
	s_waitcnt vmcnt(0)
	buffer_invl2
	buffer_wbinvl1_vol
	v_cmp_eq_u64_e32 vcc, v[4:5], v[18:19]
	s_or_b64 s[22:23], vcc, s[22:23]
	s_andn2_b64 exec, exec, s[22:23]
	s_cbranch_execnz .LBB6_339
; %bb.340:                              ;   in Loop: Header=BB6_6 Depth=2
	s_or_b64 exec, exec, s[22:23]
.LBB6_341:                              ;   in Loop: Header=BB6_6 Depth=2
	s_or_b64 exec, exec, s[20:21]
.LBB6_342:                              ;   in Loop: Header=BB6_6 Depth=2
	s_or_b64 exec, exec, s[18:19]
	global_load_dwordx2 v[12:13], v3, s[16:17] offset:40
	global_load_dwordx4 v[16:19], v3, s[16:17]
	v_readfirstlane_b32 s18, v4
	v_readfirstlane_b32 s19, v5
	s_mov_b64 s[20:21], exec
	s_waitcnt vmcnt(1)
	v_readfirstlane_b32 s22, v12
	v_readfirstlane_b32 s23, v13
	s_and_b64 s[22:23], s[18:19], s[22:23]
	s_mul_i32 s24, s23, 24
	s_mul_hi_u32 s25, s22, 24
	s_mul_i32 s26, s22, 24
	s_add_i32 s24, s25, s24
	v_mov_b32_e32 v1, s24
	s_waitcnt vmcnt(0)
	v_add_co_u32_e32 v4, vcc, s26, v16
	v_addc_co_u32_e32 v5, vcc, v17, v1, vcc
	s_and_saveexec_b64 s[24:25], s[2:3]
	s_cbranch_execz .LBB6_344
; %bb.343:                              ;   in Loop: Header=BB6_6 Depth=2
	v_pk_mov_b32 v[12:13], s[20:21], s[20:21] op_sel:[0,1]
	global_store_dwordx4 v[4:5], v[12:15], off offset:8
.LBB6_344:                              ;   in Loop: Header=BB6_6 Depth=2
	s_or_b64 exec, exec, s[24:25]
	s_lshl_b64 s[20:21], s[22:23], 12
	v_mov_b32_e32 v1, s21
	v_add_co_u32_e32 v2, vcc, s20, v18
	v_addc_co_u32_e32 v1, vcc, v19, v1, vcc
	v_pk_mov_b32 v[20:21], s[6:7], s[6:7] op_sel:[0,1]
	v_and_or_b32 v8, v8, s35, 34
	v_readfirstlane_b32 s20, v2
	v_readfirstlane_b32 s21, v1
	v_pk_mov_b32 v[18:19], s[4:5], s[4:5] op_sel:[0,1]
	s_nop 3
	global_store_dwordx4 v39, v[8:11], s[20:21]
	global_store_dwordx4 v39, v[18:21], s[20:21] offset:16
	global_store_dwordx4 v39, v[18:21], s[20:21] offset:32
	;; [unrolled: 1-line block ×3, first 2 shown]
	s_and_saveexec_b64 s[20:21], s[2:3]
	s_cbranch_execz .LBB6_352
; %bb.345:                              ;   in Loop: Header=BB6_6 Depth=2
	global_load_dwordx2 v[20:21], v3, s[16:17] offset:32 glc
	global_load_dwordx2 v[8:9], v3, s[16:17] offset:40
	v_mov_b32_e32 v18, s18
	v_mov_b32_e32 v19, s19
	s_waitcnt vmcnt(0)
	v_readfirstlane_b32 s22, v8
	v_readfirstlane_b32 s23, v9
	s_and_b64 s[22:23], s[22:23], s[18:19]
	s_mul_i32 s23, s23, 24
	s_mul_hi_u32 s24, s22, 24
	s_mul_i32 s22, s22, 24
	s_add_i32 s23, s24, s23
	v_mov_b32_e32 v1, s23
	v_add_co_u32_e32 v8, vcc, s22, v16
	v_addc_co_u32_e32 v9, vcc, v17, v1, vcc
	global_store_dwordx2 v[8:9], v[20:21], off
	buffer_wbl2
	s_waitcnt vmcnt(0)
	global_atomic_cmpswap_x2 v[18:19], v3, v[18:21], s[16:17] offset:32 glc
	s_waitcnt vmcnt(0)
	v_cmp_ne_u64_e32 vcc, v[18:19], v[20:21]
	s_and_saveexec_b64 s[22:23], vcc
	s_cbranch_execz .LBB6_348
; %bb.346:                              ;   in Loop: Header=BB6_6 Depth=2
	s_mov_b64 s[24:25], 0
.LBB6_347:                              ;   Parent Loop BB6_3 Depth=1
                                        ;     Parent Loop BB6_6 Depth=2
                                        ; =>    This Inner Loop Header: Depth=3
	s_sleep 1
	global_store_dwordx2 v[8:9], v[18:19], off
	v_mov_b32_e32 v16, s18
	v_mov_b32_e32 v17, s19
	buffer_wbl2
	s_waitcnt vmcnt(0)
	global_atomic_cmpswap_x2 v[12:13], v3, v[16:19], s[16:17] offset:32 glc
	s_waitcnt vmcnt(0)
	v_cmp_eq_u64_e32 vcc, v[12:13], v[18:19]
	s_or_b64 s[24:25], vcc, s[24:25]
	v_pk_mov_b32 v[18:19], v[12:13], v[12:13] op_sel:[0,1]
	s_andn2_b64 exec, exec, s[24:25]
	s_cbranch_execnz .LBB6_347
.LBB6_348:                              ;   in Loop: Header=BB6_6 Depth=2
	s_or_b64 exec, exec, s[22:23]
	global_load_dwordx2 v[8:9], v3, s[16:17] offset:16
	s_mov_b64 s[24:25], exec
	v_mbcnt_lo_u32_b32 v1, s24, 0
	v_mbcnt_hi_u32_b32 v1, s25, v1
	v_cmp_eq_u32_e32 vcc, 0, v1
	s_and_saveexec_b64 s[22:23], vcc
	s_cbranch_execz .LBB6_350
; %bb.349:                              ;   in Loop: Header=BB6_6 Depth=2
	s_bcnt1_i32_b64 s24, s[24:25]
	v_mov_b32_e32 v2, s24
	buffer_wbl2
	s_waitcnt vmcnt(0)
	global_atomic_add_x2 v[8:9], v[2:3], off offset:8
.LBB6_350:                              ;   in Loop: Header=BB6_6 Depth=2
	s_or_b64 exec, exec, s[22:23]
	s_waitcnt vmcnt(0)
	global_load_dwordx2 v[12:13], v[8:9], off offset:16
	s_waitcnt vmcnt(0)
	v_cmp_eq_u64_e32 vcc, 0, v[12:13]
	s_cbranch_vccnz .LBB6_352
; %bb.351:                              ;   in Loop: Header=BB6_6 Depth=2
	global_load_dword v2, v[8:9], off offset:24
	s_waitcnt vmcnt(0)
	v_and_b32_e32 v1, 0xffffff, v2
	v_readfirstlane_b32 m0, v1
	buffer_wbl2
	global_store_dwordx2 v[12:13], v[2:3], off
	s_sendmsg sendmsg(MSG_INTERRUPT)
.LBB6_352:                              ;   in Loop: Header=BB6_6 Depth=2
	s_or_b64 exec, exec, s[20:21]
	s_branch .LBB6_356
.LBB6_353:                              ;   in Loop: Header=BB6_356 Depth=3
	s_or_b64 exec, exec, s[20:21]
	v_readfirstlane_b32 s20, v1
	s_cmp_eq_u32 s20, 0
	s_cbranch_scc1 .LBB6_355
; %bb.354:                              ;   in Loop: Header=BB6_356 Depth=3
	s_sleep 1
	s_cbranch_execnz .LBB6_356
	s_branch .LBB6_358
.LBB6_355:                              ;   in Loop: Header=BB6_6 Depth=2
	s_branch .LBB6_358
.LBB6_356:                              ;   Parent Loop BB6_3 Depth=1
                                        ;     Parent Loop BB6_6 Depth=2
                                        ; =>    This Inner Loop Header: Depth=3
	v_mov_b32_e32 v1, 1
	s_and_saveexec_b64 s[20:21], s[2:3]
	s_cbranch_execz .LBB6_353
; %bb.357:                              ;   in Loop: Header=BB6_356 Depth=3
	global_load_dword v1, v[4:5], off offset:20 glc
	s_waitcnt vmcnt(0)
	buffer_invl2
	buffer_wbinvl1_vol
	v_and_b32_e32 v1, 1, v1
	s_branch .LBB6_353
.LBB6_358:                              ;   in Loop: Header=BB6_6 Depth=2
	s_and_saveexec_b64 s[20:21], s[2:3]
	s_cbranch_execz .LBB6_5
; %bb.359:                              ;   in Loop: Header=BB6_6 Depth=2
	global_load_dwordx2 v[4:5], v3, s[16:17] offset:40
	global_load_dwordx2 v[8:9], v3, s[16:17] offset:24 glc
	global_load_dwordx2 v[12:13], v3, s[16:17]
	v_mov_b32_e32 v1, s19
	s_waitcnt vmcnt(2)
	v_add_co_u32_e32 v2, vcc, 1, v4
	v_addc_co_u32_e32 v19, vcc, 0, v5, vcc
	v_add_co_u32_e32 v16, vcc, s18, v2
	v_addc_co_u32_e32 v17, vcc, v19, v1, vcc
	v_cmp_eq_u64_e32 vcc, 0, v[16:17]
	v_cndmask_b32_e32 v17, v17, v19, vcc
	v_cndmask_b32_e32 v16, v16, v2, vcc
	v_and_b32_e32 v1, v17, v5
	v_and_b32_e32 v2, v16, v4
	v_mul_lo_u32 v1, v1, 24
	v_mul_hi_u32 v4, v2, 24
	v_mul_lo_u32 v2, v2, 24
	v_add_u32_e32 v1, v4, v1
	s_waitcnt vmcnt(0)
	v_add_co_u32_e32 v4, vcc, v12, v2
	v_addc_co_u32_e32 v5, vcc, v13, v1, vcc
	v_mov_b32_e32 v18, v8
	global_store_dwordx2 v[4:5], v[8:9], off
	v_mov_b32_e32 v19, v9
	buffer_wbl2
	s_waitcnt vmcnt(0)
	global_atomic_cmpswap_x2 v[18:19], v3, v[16:19], s[16:17] offset:24 glc
	s_waitcnt vmcnt(0)
	v_cmp_ne_u64_e32 vcc, v[18:19], v[8:9]
	s_and_b64 exec, exec, vcc
	s_cbranch_execz .LBB6_5
; %bb.360:                              ;   in Loop: Header=BB6_6 Depth=2
	s_mov_b64 s[2:3], 0
.LBB6_361:                              ;   Parent Loop BB6_3 Depth=1
                                        ;     Parent Loop BB6_6 Depth=2
                                        ; =>    This Inner Loop Header: Depth=3
	s_sleep 1
	global_store_dwordx2 v[4:5], v[18:19], off
	buffer_wbl2
	s_waitcnt vmcnt(0)
	global_atomic_cmpswap_x2 v[8:9], v3, v[16:19], s[16:17] offset:24 glc
	s_waitcnt vmcnt(0)
	v_cmp_eq_u64_e32 vcc, v[8:9], v[18:19]
	s_or_b64 s[2:3], vcc, s[2:3]
	v_pk_mov_b32 v[18:19], v[8:9], v[8:9] op_sel:[0,1]
	s_andn2_b64 exec, exec, s[2:3]
	s_cbranch_execnz .LBB6_361
	s_branch .LBB6_5
.LBB6_362:
	s_endpgm
	.section	.rodata,"a",@progbits
	.p2align	6, 0x0
	.amdhsa_kernel _ZN19hipPrintfStressTest26kernel_decimal_calculationEji
		.amdhsa_group_segment_fixed_size 0
		.amdhsa_private_segment_fixed_size 0
		.amdhsa_kernarg_size 264
		.amdhsa_user_sgpr_count 6
		.amdhsa_user_sgpr_private_segment_buffer 1
		.amdhsa_user_sgpr_dispatch_ptr 0
		.amdhsa_user_sgpr_queue_ptr 0
		.amdhsa_user_sgpr_kernarg_segment_ptr 1
		.amdhsa_user_sgpr_dispatch_id 0
		.amdhsa_user_sgpr_flat_scratch_init 0
		.amdhsa_user_sgpr_kernarg_preload_length 0
		.amdhsa_user_sgpr_kernarg_preload_offset 0
		.amdhsa_user_sgpr_private_segment_size 0
		.amdhsa_uses_dynamic_stack 0
		.amdhsa_system_sgpr_private_segment_wavefront_offset 0
		.amdhsa_system_sgpr_workgroup_id_x 1
		.amdhsa_system_sgpr_workgroup_id_y 0
		.amdhsa_system_sgpr_workgroup_id_z 0
		.amdhsa_system_sgpr_workgroup_info 0
		.amdhsa_system_vgpr_workitem_id 0
		.amdhsa_next_free_vgpr 40
		.amdhsa_next_free_sgpr 39
		.amdhsa_accum_offset 40
		.amdhsa_reserve_vcc 1
		.amdhsa_reserve_flat_scratch 0
		.amdhsa_float_round_mode_32 0
		.amdhsa_float_round_mode_16_64 0
		.amdhsa_float_denorm_mode_32 3
		.amdhsa_float_denorm_mode_16_64 3
		.amdhsa_dx10_clamp 1
		.amdhsa_ieee_mode 1
		.amdhsa_fp16_overflow 0
		.amdhsa_tg_split 0
		.amdhsa_exception_fp_ieee_invalid_op 0
		.amdhsa_exception_fp_denorm_src 0
		.amdhsa_exception_fp_ieee_div_zero 0
		.amdhsa_exception_fp_ieee_overflow 0
		.amdhsa_exception_fp_ieee_underflow 0
		.amdhsa_exception_fp_ieee_inexact 0
		.amdhsa_exception_int_div_zero 0
	.end_amdhsa_kernel
	.text
.Lfunc_end6:
	.size	_ZN19hipPrintfStressTest26kernel_decimal_calculationEji, .Lfunc_end6-_ZN19hipPrintfStressTest26kernel_decimal_calculationEji
                                        ; -- End function
	.section	.AMDGPU.csdata,"",@progbits
; Kernel info:
; codeLenInByte = 13224
; NumSgprs: 43
; NumVgprs: 40
; NumAgprs: 0
; TotalNumVgprs: 40
; ScratchSize: 0
; MemoryBound: 0
; FloatMode: 240
; IeeeMode: 1
; LDSByteSize: 0 bytes/workgroup (compile time only)
; SGPRBlocks: 5
; VGPRBlocks: 4
; NumSGPRsForWavesPerEU: 43
; NumVGPRsForWavesPerEU: 40
; AccumOffset: 40
; Occupancy: 8
; WaveLimiterHint : 1
; COMPUTE_PGM_RSRC2:SCRATCH_EN: 0
; COMPUTE_PGM_RSRC2:USER_SGPR: 6
; COMPUTE_PGM_RSRC2:TRAP_HANDLER: 0
; COMPUTE_PGM_RSRC2:TGID_X_EN: 1
; COMPUTE_PGM_RSRC2:TGID_Y_EN: 0
; COMPUTE_PGM_RSRC2:TGID_Z_EN: 0
; COMPUTE_PGM_RSRC2:TIDIG_COMP_CNT: 0
; COMPUTE_PGM_RSRC3_GFX90A:ACCUM_OFFSET: 9
; COMPUTE_PGM_RSRC3_GFX90A:TG_SPLIT: 0
	.text
	.protected	_ZN19hipPrintfStressTest17kernel_shared_memEv ; -- Begin function _ZN19hipPrintfStressTest17kernel_shared_memEv
	.globl	_ZN19hipPrintfStressTest17kernel_shared_memEv
	.p2align	8
	.type	_ZN19hipPrintfStressTest17kernel_shared_memEv,@function
_ZN19hipPrintfStressTest17kernel_shared_memEv: ; @_ZN19hipPrintfStressTest17kernel_shared_memEv
; %bb.0:
	s_mov_b64 s[0:1], exec
	v_mov_b32_e32 v1, 0
	s_mov_b32 s2, 0
	ds_write_b32 v1, v1
	s_waitcnt lgkmcnt(0)
	s_barrier
.LBB7_1:                                ; =>This Inner Loop Header: Depth=1
	s_ff1_i32_b64 s3, s[0:1]
	v_readlane_b32 s8, v0, s3
	s_lshl_b64 s[6:7], 1, s3
	s_add_i32 s2, s2, s8
	s_andn2_b64 s[0:1], s[0:1], s[6:7]
	s_cmp_lg_u64 s[0:1], 0
	s_cbranch_scc1 .LBB7_1
; %bb.2:
	v_mbcnt_lo_u32_b32 v0, exec_lo, 0
	v_mbcnt_hi_u32_b32 v0, exec_hi, v0
	v_cmp_eq_u32_e32 vcc, 0, v0
	s_and_saveexec_b64 s[0:1], vcc
	s_xor_b64 s[0:1], exec, s[0:1]
	s_cbranch_execz .LBB7_4
; %bb.3:
	v_mov_b32_e32 v0, 0
	v_mov_b32_e32 v1, s2
	ds_add_u32 v0, v1
.LBB7_4:
	s_or_b64 exec, exec, s[0:1]
	v_mov_b32_e32 v6, 0
	s_waitcnt lgkmcnt(0)
	s_barrier
	ds_read_b32 v34, v6
	s_load_dwordx2 s[2:3], s[4:5], 0x50
	v_mbcnt_lo_u32_b32 v0, -1, 0
	v_mbcnt_hi_u32_b32 v36, -1, v0
	v_readfirstlane_b32 s0, v36
	v_cmp_eq_u32_e64 s[0:1], s0, v36
	v_pk_mov_b32 v[4:5], 0, 0
	s_and_saveexec_b64 s[4:5], s[0:1]
	s_cbranch_execz .LBB7_10
; %bb.5:
	s_waitcnt lgkmcnt(0)
	global_load_dwordx2 v[2:3], v6, s[2:3] offset:24 glc
	s_waitcnt vmcnt(0)
	buffer_invl2
	buffer_wbinvl1_vol
	global_load_dwordx2 v[0:1], v6, s[2:3] offset:40
	global_load_dwordx2 v[4:5], v6, s[2:3]
	s_waitcnt vmcnt(1)
	v_and_b32_e32 v0, v0, v2
	v_and_b32_e32 v1, v1, v3
	v_mul_lo_u32 v1, v1, 24
	v_mul_hi_u32 v7, v0, 24
	v_mul_lo_u32 v0, v0, 24
	v_add_u32_e32 v1, v7, v1
	s_waitcnt vmcnt(0)
	v_add_co_u32_e32 v0, vcc, v4, v0
	v_addc_co_u32_e32 v1, vcc, v5, v1, vcc
	global_load_dwordx2 v[0:1], v[0:1], off glc
	s_waitcnt vmcnt(0)
	global_atomic_cmpswap_x2 v[4:5], v6, v[0:3], s[2:3] offset:24 glc
	s_waitcnt vmcnt(0)
	buffer_invl2
	buffer_wbinvl1_vol
	v_cmp_ne_u64_e32 vcc, v[4:5], v[2:3]
	s_and_saveexec_b64 s[6:7], vcc
	s_cbranch_execz .LBB7_9
; %bb.6:
	s_mov_b64 s[8:9], 0
	v_mov_b32_e32 v0, 0
.LBB7_7:                                ; =>This Inner Loop Header: Depth=1
	s_sleep 1
	global_load_dwordx2 v[2:3], v0, s[2:3] offset:40
	global_load_dwordx2 v[8:9], v0, s[2:3]
	v_pk_mov_b32 v[10:11], v[4:5], v[4:5] op_sel:[0,1]
	s_waitcnt vmcnt(1)
	v_and_b32_e32 v2, v2, v10
	v_and_b32_e32 v1, v3, v11
	s_waitcnt vmcnt(0)
	v_mad_u64_u32 v[2:3], s[10:11], v2, 24, v[8:9]
	v_mov_b32_e32 v4, v3
	v_mad_u64_u32 v[4:5], s[10:11], v1, 24, v[4:5]
	v_mov_b32_e32 v3, v4
	global_load_dwordx2 v[8:9], v[2:3], off glc
	s_waitcnt vmcnt(0)
	global_atomic_cmpswap_x2 v[4:5], v0, v[8:11], s[2:3] offset:24 glc
	s_waitcnt vmcnt(0)
	buffer_invl2
	buffer_wbinvl1_vol
	v_cmp_eq_u64_e32 vcc, v[4:5], v[10:11]
	s_or_b64 s[8:9], vcc, s[8:9]
	s_andn2_b64 exec, exec, s[8:9]
	s_cbranch_execnz .LBB7_7
; %bb.8:
	s_or_b64 exec, exec, s[8:9]
.LBB7_9:
	s_or_b64 exec, exec, s[6:7]
.LBB7_10:
	s_or_b64 exec, exec, s[4:5]
	s_waitcnt lgkmcnt(0)
	global_load_dwordx2 v[8:9], v6, s[2:3] offset:40
	global_load_dwordx4 v[0:3], v6, s[2:3]
	v_readfirstlane_b32 s4, v4
	v_readfirstlane_b32 s5, v5
	s_mov_b64 s[6:7], exec
	s_waitcnt vmcnt(1)
	v_readfirstlane_b32 s8, v8
	v_readfirstlane_b32 s9, v9
	s_and_b64 s[8:9], s[4:5], s[8:9]
	s_mul_i32 s10, s9, 24
	s_mul_hi_u32 s11, s8, 24
	s_mul_i32 s12, s8, 24
	s_add_i32 s10, s11, s10
	v_mov_b32_e32 v4, s10
	s_waitcnt vmcnt(0)
	v_add_co_u32_e32 v8, vcc, s12, v0
	v_addc_co_u32_e32 v9, vcc, v1, v4, vcc
	s_and_saveexec_b64 s[10:11], s[0:1]
	s_cbranch_execz .LBB7_12
; %bb.11:
	v_pk_mov_b32 v[4:5], s[6:7], s[6:7] op_sel:[0,1]
	v_mov_b32_e32 v6, 2
	v_mov_b32_e32 v7, 1
	global_store_dwordx4 v[8:9], v[4:7], off offset:8
.LBB7_12:
	s_or_b64 exec, exec, s[10:11]
	s_lshl_b64 s[6:7], s[8:9], 12
	v_mov_b32_e32 v4, s7
	v_add_co_u32_e32 v6, vcc, s6, v2
	v_addc_co_u32_e32 v7, vcc, v3, v4, vcc
	s_mov_b32 s8, 0
	v_mov_b32_e32 v3, 0
	v_lshlrev_b32_e32 v35, 6, v36
	v_add_co_u32_e32 v10, vcc, v6, v35
	v_mov_b32_e32 v2, 33
	v_mov_b32_e32 v4, v3
	;; [unrolled: 1-line block ×3, first 2 shown]
	v_readfirstlane_b32 s6, v6
	v_readfirstlane_b32 s7, v7
	s_mov_b32 s9, s8
	v_addc_co_u32_e32 v11, vcc, 0, v7, vcc
	s_mov_b32 s10, s8
	s_mov_b32 s11, s8
	s_nop 0
	global_store_dwordx4 v35, v[2:5], s[6:7]
	s_nop 0
	v_pk_mov_b32 v[4:5], s[8:9], s[8:9] op_sel:[0,1]
	v_pk_mov_b32 v[6:7], s[10:11], s[10:11] op_sel:[0,1]
	global_store_dwordx4 v35, v[4:7], s[6:7] offset:16
	global_store_dwordx4 v35, v[4:7], s[6:7] offset:32
	;; [unrolled: 1-line block ×3, first 2 shown]
	s_and_saveexec_b64 s[6:7], s[0:1]
	s_cbranch_execz .LBB7_20
; %bb.13:
	global_load_dwordx2 v[14:15], v3, s[2:3] offset:32 glc
	global_load_dwordx2 v[4:5], v3, s[2:3] offset:40
	v_mov_b32_e32 v12, s4
	v_mov_b32_e32 v13, s5
	s_waitcnt vmcnt(0)
	v_and_b32_e32 v2, s4, v4
	v_and_b32_e32 v4, s5, v5
	v_mul_lo_u32 v4, v4, 24
	v_mul_hi_u32 v5, v2, 24
	v_mul_lo_u32 v2, v2, 24
	v_add_u32_e32 v4, v5, v4
	v_add_co_u32_e32 v0, vcc, v0, v2
	v_addc_co_u32_e32 v1, vcc, v1, v4, vcc
	global_store_dwordx2 v[0:1], v[14:15], off
	buffer_wbl2
	s_waitcnt vmcnt(0)
	global_atomic_cmpswap_x2 v[6:7], v3, v[12:15], s[2:3] offset:32 glc
	s_waitcnt vmcnt(0)
	v_cmp_ne_u64_e32 vcc, v[6:7], v[14:15]
	s_and_saveexec_b64 s[8:9], vcc
	s_cbranch_execz .LBB7_16
; %bb.14:
	s_mov_b64 s[10:11], 0
.LBB7_15:                               ; =>This Inner Loop Header: Depth=1
	s_sleep 1
	global_store_dwordx2 v[0:1], v[6:7], off
	v_mov_b32_e32 v4, s4
	v_mov_b32_e32 v5, s5
	buffer_wbl2
	s_waitcnt vmcnt(0)
	global_atomic_cmpswap_x2 v[4:5], v3, v[4:7], s[2:3] offset:32 glc
	s_waitcnt vmcnt(0)
	v_cmp_eq_u64_e32 vcc, v[4:5], v[6:7]
	s_or_b64 s[10:11], vcc, s[10:11]
	v_pk_mov_b32 v[6:7], v[4:5], v[4:5] op_sel:[0,1]
	s_andn2_b64 exec, exec, s[10:11]
	s_cbranch_execnz .LBB7_15
.LBB7_16:
	s_or_b64 exec, exec, s[8:9]
	v_mov_b32_e32 v3, 0
	global_load_dwordx2 v[0:1], v3, s[2:3] offset:16
	s_mov_b64 s[8:9], exec
	v_mbcnt_lo_u32_b32 v2, s8, 0
	v_mbcnt_hi_u32_b32 v2, s9, v2
	v_cmp_eq_u32_e32 vcc, 0, v2
	s_and_saveexec_b64 s[10:11], vcc
	s_cbranch_execz .LBB7_18
; %bb.17:
	s_bcnt1_i32_b64 s8, s[8:9]
	v_mov_b32_e32 v2, s8
	buffer_wbl2
	s_waitcnt vmcnt(0)
	global_atomic_add_x2 v[0:1], v[2:3], off offset:8
.LBB7_18:
	s_or_b64 exec, exec, s[10:11]
	s_waitcnt vmcnt(0)
	global_load_dwordx2 v[2:3], v[0:1], off offset:16
	s_waitcnt vmcnt(0)
	v_cmp_eq_u64_e32 vcc, 0, v[2:3]
	s_cbranch_vccnz .LBB7_20
; %bb.19:
	global_load_dword v0, v[0:1], off offset:24
	v_mov_b32_e32 v1, 0
	buffer_wbl2
	s_waitcnt vmcnt(0)
	global_store_dwordx2 v[2:3], v[0:1], off
	v_and_b32_e32 v0, 0xffffff, v0
	v_readfirstlane_b32 m0, v0
	s_sendmsg sendmsg(MSG_INTERRUPT)
.LBB7_20:
	s_or_b64 exec, exec, s[6:7]
	s_branch .LBB7_24
.LBB7_21:                               ;   in Loop: Header=BB7_24 Depth=1
	s_or_b64 exec, exec, s[6:7]
	v_readfirstlane_b32 s6, v0
	s_cmp_eq_u32 s6, 0
	s_cbranch_scc1 .LBB7_23
; %bb.22:                               ;   in Loop: Header=BB7_24 Depth=1
	s_sleep 1
	s_cbranch_execnz .LBB7_24
	s_branch .LBB7_26
.LBB7_23:
	s_branch .LBB7_26
.LBB7_24:                               ; =>This Inner Loop Header: Depth=1
	v_mov_b32_e32 v0, 1
	s_and_saveexec_b64 s[6:7], s[0:1]
	s_cbranch_execz .LBB7_21
; %bb.25:                               ;   in Loop: Header=BB7_24 Depth=1
	global_load_dword v0, v[8:9], off offset:20 glc
	s_waitcnt vmcnt(0)
	buffer_invl2
	buffer_wbinvl1_vol
	v_and_b32_e32 v0, 1, v0
	s_branch .LBB7_21
.LBB7_26:
	global_load_dwordx2 v[4:5], v[10:11], off
	s_and_saveexec_b64 s[6:7], s[0:1]
	s_cbranch_execz .LBB7_29
; %bb.27:
	v_mov_b32_e32 v8, 0
	global_load_dwordx2 v[6:7], v8, s[2:3] offset:40
	global_load_dwordx2 v[10:11], v8, s[2:3] offset:24 glc
	global_load_dwordx2 v[12:13], v8, s[2:3]
	v_mov_b32_e32 v1, s5
	s_mov_b64 s[0:1], 0
	s_waitcnt vmcnt(2)
	v_add_co_u32_e32 v3, vcc, 1, v6
	v_addc_co_u32_e32 v9, vcc, 0, v7, vcc
	v_add_co_u32_e32 v0, vcc, s4, v3
	v_addc_co_u32_e32 v1, vcc, v9, v1, vcc
	v_cmp_eq_u64_e32 vcc, 0, v[0:1]
	v_cndmask_b32_e32 v1, v1, v9, vcc
	v_cndmask_b32_e32 v0, v0, v3, vcc
	v_and_b32_e32 v3, v1, v7
	v_and_b32_e32 v6, v0, v6
	v_mul_lo_u32 v3, v3, 24
	v_mul_hi_u32 v7, v6, 24
	v_mul_lo_u32 v6, v6, 24
	v_add_u32_e32 v3, v7, v3
	s_waitcnt vmcnt(0)
	v_add_co_u32_e32 v6, vcc, v12, v6
	v_addc_co_u32_e32 v7, vcc, v13, v3, vcc
	v_mov_b32_e32 v2, v10
	global_store_dwordx2 v[6:7], v[10:11], off
	v_mov_b32_e32 v3, v11
	buffer_wbl2
	s_waitcnt vmcnt(0)
	global_atomic_cmpswap_x2 v[2:3], v8, v[0:3], s[2:3] offset:24 glc
	s_waitcnt vmcnt(0)
	v_cmp_ne_u64_e32 vcc, v[2:3], v[10:11]
	s_and_b64 exec, exec, vcc
	s_cbranch_execz .LBB7_29
.LBB7_28:                               ; =>This Inner Loop Header: Depth=1
	s_sleep 1
	global_store_dwordx2 v[6:7], v[2:3], off
	buffer_wbl2
	s_waitcnt vmcnt(0)
	global_atomic_cmpswap_x2 v[10:11], v8, v[0:3], s[2:3] offset:24 glc
	s_waitcnt vmcnt(0)
	v_cmp_eq_u64_e32 vcc, v[10:11], v[2:3]
	s_or_b64 s[0:1], vcc, s[0:1]
	v_pk_mov_b32 v[2:3], v[10:11], v[10:11] op_sel:[0,1]
	s_andn2_b64 exec, exec, s[0:1]
	s_cbranch_execnz .LBB7_28
.LBB7_29:
	s_or_b64 exec, exec, s[6:7]
	s_getpc_b64 s[4:5]
	s_add_u32 s4, s4, .str.7@rel32@lo+4
	s_addc_u32 s5, s5, .str.7@rel32@hi+12
	s_cmp_lg_u64 s[4:5], 0
	s_cbranch_scc0 .LBB7_114
; %bb.30:
	s_waitcnt vmcnt(0)
	v_and_b32_e32 v26, 2, v4
	v_mov_b32_e32 v29, 0
	v_and_b32_e32 v0, -3, v4
	v_mov_b32_e32 v1, v5
	s_mov_b64 s[6:7], 6
	v_mov_b32_e32 v8, 2
	v_mov_b32_e32 v9, 1
	s_branch .LBB7_32
.LBB7_31:                               ;   in Loop: Header=BB7_32 Depth=1
	s_or_b64 exec, exec, s[12:13]
	s_sub_u32 s6, s6, s8
	s_subb_u32 s7, s7, s9
	s_add_u32 s4, s4, s8
	s_addc_u32 s5, s5, s9
	s_cmp_lg_u64 s[6:7], 0
	s_cbranch_scc0 .LBB7_113
.LBB7_32:                               ; =>This Loop Header: Depth=1
                                        ;     Child Loop BB7_35 Depth 2
                                        ;     Child Loop BB7_42 Depth 2
	;; [unrolled: 1-line block ×11, first 2 shown]
	v_cmp_lt_u64_e64 s[0:1], s[6:7], 56
	s_and_b64 s[0:1], s[0:1], exec
	v_cmp_gt_u64_e64 s[0:1], s[6:7], 7
	s_cselect_b32 s9, s7, 0
	s_cselect_b32 s8, s6, 56
	s_and_b64 vcc, exec, s[0:1]
	s_cbranch_vccnz .LBB7_37
; %bb.33:                               ;   in Loop: Header=BB7_32 Depth=1
	s_mov_b64 s[0:1], 0
	s_cmp_eq_u64 s[6:7], 0
	s_waitcnt vmcnt(0)
	v_pk_mov_b32 v[2:3], 0, 0
	s_cbranch_scc1 .LBB7_36
; %bb.34:                               ;   in Loop: Header=BB7_32 Depth=1
	s_lshl_b64 s[10:11], s[8:9], 3
	s_mov_b64 s[12:13], 0
	v_pk_mov_b32 v[2:3], 0, 0
	s_mov_b64 s[14:15], s[4:5]
.LBB7_35:                               ;   Parent Loop BB7_32 Depth=1
                                        ; =>  This Inner Loop Header: Depth=2
	global_load_ubyte v6, v29, s[14:15]
	s_waitcnt vmcnt(0)
	v_and_b32_e32 v28, 0xffff, v6
	v_lshlrev_b64 v[6:7], s12, v[28:29]
	s_add_u32 s12, s12, 8
	s_addc_u32 s13, s13, 0
	s_add_u32 s14, s14, 1
	s_addc_u32 s15, s15, 0
	v_or_b32_e32 v2, v6, v2
	s_cmp_lg_u32 s10, s12
	v_or_b32_e32 v3, v7, v3
	s_cbranch_scc1 .LBB7_35
.LBB7_36:                               ;   in Loop: Header=BB7_32 Depth=1
	s_mov_b32 s14, 0
	s_andn2_b64 vcc, exec, s[0:1]
	s_mov_b64 s[0:1], s[4:5]
	s_cbranch_vccz .LBB7_38
	s_branch .LBB7_39
.LBB7_37:                               ;   in Loop: Header=BB7_32 Depth=1
                                        ; implicit-def: $vgpr2_vgpr3
                                        ; implicit-def: $sgpr14
	s_mov_b64 s[0:1], s[4:5]
.LBB7_38:                               ;   in Loop: Header=BB7_32 Depth=1
	global_load_dwordx2 v[2:3], v29, s[4:5]
	s_add_i32 s14, s8, -8
	s_add_u32 s0, s4, 8
	s_addc_u32 s1, s5, 0
.LBB7_39:                               ;   in Loop: Header=BB7_32 Depth=1
	s_cmp_gt_u32 s14, 7
	s_cbranch_scc1 .LBB7_43
; %bb.40:                               ;   in Loop: Header=BB7_32 Depth=1
	s_cmp_eq_u32 s14, 0
	s_cbranch_scc1 .LBB7_44
; %bb.41:                               ;   in Loop: Header=BB7_32 Depth=1
	s_mov_b64 s[10:11], 0
	v_pk_mov_b32 v[10:11], 0, 0
	s_mov_b64 s[12:13], 0
.LBB7_42:                               ;   Parent Loop BB7_32 Depth=1
                                        ; =>  This Inner Loop Header: Depth=2
	s_add_u32 s16, s0, s12
	s_addc_u32 s17, s1, s13
	global_load_ubyte v6, v29, s[16:17]
	s_add_u32 s12, s12, 1
	s_addc_u32 s13, s13, 0
	s_waitcnt vmcnt(0)
	v_and_b32_e32 v28, 0xffff, v6
	v_lshlrev_b64 v[6:7], s10, v[28:29]
	s_add_u32 s10, s10, 8
	s_addc_u32 s11, s11, 0
	v_or_b32_e32 v10, v6, v10
	s_cmp_lg_u32 s14, s12
	v_or_b32_e32 v11, v7, v11
	s_cbranch_scc1 .LBB7_42
	s_branch .LBB7_45
.LBB7_43:                               ;   in Loop: Header=BB7_32 Depth=1
                                        ; implicit-def: $vgpr10_vgpr11
                                        ; implicit-def: $sgpr15
	s_branch .LBB7_46
.LBB7_44:                               ;   in Loop: Header=BB7_32 Depth=1
	v_pk_mov_b32 v[10:11], 0, 0
.LBB7_45:                               ;   in Loop: Header=BB7_32 Depth=1
	s_mov_b32 s15, 0
	s_cbranch_execnz .LBB7_47
.LBB7_46:                               ;   in Loop: Header=BB7_32 Depth=1
	global_load_dwordx2 v[10:11], v29, s[0:1]
	s_add_i32 s15, s14, -8
	s_add_u32 s0, s0, 8
	s_addc_u32 s1, s1, 0
.LBB7_47:                               ;   in Loop: Header=BB7_32 Depth=1
	s_cmp_gt_u32 s15, 7
	s_cbranch_scc1 .LBB7_51
; %bb.48:                               ;   in Loop: Header=BB7_32 Depth=1
	s_cmp_eq_u32 s15, 0
	s_cbranch_scc1 .LBB7_52
; %bb.49:                               ;   in Loop: Header=BB7_32 Depth=1
	s_mov_b64 s[10:11], 0
	v_pk_mov_b32 v[12:13], 0, 0
	s_mov_b64 s[12:13], 0
.LBB7_50:                               ;   Parent Loop BB7_32 Depth=1
                                        ; =>  This Inner Loop Header: Depth=2
	s_add_u32 s16, s0, s12
	s_addc_u32 s17, s1, s13
	global_load_ubyte v6, v29, s[16:17]
	s_add_u32 s12, s12, 1
	s_addc_u32 s13, s13, 0
	s_waitcnt vmcnt(0)
	v_and_b32_e32 v28, 0xffff, v6
	v_lshlrev_b64 v[6:7], s10, v[28:29]
	s_add_u32 s10, s10, 8
	s_addc_u32 s11, s11, 0
	v_or_b32_e32 v12, v6, v12
	s_cmp_lg_u32 s15, s12
	v_or_b32_e32 v13, v7, v13
	s_cbranch_scc1 .LBB7_50
	s_branch .LBB7_53
.LBB7_51:                               ;   in Loop: Header=BB7_32 Depth=1
                                        ; implicit-def: $sgpr14
	s_branch .LBB7_54
.LBB7_52:                               ;   in Loop: Header=BB7_32 Depth=1
	v_pk_mov_b32 v[12:13], 0, 0
.LBB7_53:                               ;   in Loop: Header=BB7_32 Depth=1
	s_mov_b32 s14, 0
	s_cbranch_execnz .LBB7_55
.LBB7_54:                               ;   in Loop: Header=BB7_32 Depth=1
	global_load_dwordx2 v[12:13], v29, s[0:1]
	s_add_i32 s14, s15, -8
	s_add_u32 s0, s0, 8
	s_addc_u32 s1, s1, 0
.LBB7_55:                               ;   in Loop: Header=BB7_32 Depth=1
	s_cmp_gt_u32 s14, 7
	s_cbranch_scc1 .LBB7_59
; %bb.56:                               ;   in Loop: Header=BB7_32 Depth=1
	s_cmp_eq_u32 s14, 0
	s_cbranch_scc1 .LBB7_60
; %bb.57:                               ;   in Loop: Header=BB7_32 Depth=1
	s_mov_b64 s[10:11], 0
	v_pk_mov_b32 v[14:15], 0, 0
	s_mov_b64 s[12:13], 0
.LBB7_58:                               ;   Parent Loop BB7_32 Depth=1
                                        ; =>  This Inner Loop Header: Depth=2
	s_add_u32 s16, s0, s12
	s_addc_u32 s17, s1, s13
	global_load_ubyte v6, v29, s[16:17]
	s_add_u32 s12, s12, 1
	s_addc_u32 s13, s13, 0
	s_waitcnt vmcnt(0)
	v_and_b32_e32 v28, 0xffff, v6
	v_lshlrev_b64 v[6:7], s10, v[28:29]
	s_add_u32 s10, s10, 8
	s_addc_u32 s11, s11, 0
	v_or_b32_e32 v14, v6, v14
	s_cmp_lg_u32 s14, s12
	v_or_b32_e32 v15, v7, v15
	s_cbranch_scc1 .LBB7_58
	s_branch .LBB7_61
.LBB7_59:                               ;   in Loop: Header=BB7_32 Depth=1
                                        ; implicit-def: $vgpr14_vgpr15
                                        ; implicit-def: $sgpr15
	s_branch .LBB7_62
.LBB7_60:                               ;   in Loop: Header=BB7_32 Depth=1
	v_pk_mov_b32 v[14:15], 0, 0
.LBB7_61:                               ;   in Loop: Header=BB7_32 Depth=1
	s_mov_b32 s15, 0
	s_cbranch_execnz .LBB7_63
.LBB7_62:                               ;   in Loop: Header=BB7_32 Depth=1
	global_load_dwordx2 v[14:15], v29, s[0:1]
	s_add_i32 s15, s14, -8
	s_add_u32 s0, s0, 8
	s_addc_u32 s1, s1, 0
.LBB7_63:                               ;   in Loop: Header=BB7_32 Depth=1
	s_cmp_gt_u32 s15, 7
	s_cbranch_scc1 .LBB7_67
; %bb.64:                               ;   in Loop: Header=BB7_32 Depth=1
	s_cmp_eq_u32 s15, 0
	s_cbranch_scc1 .LBB7_68
; %bb.65:                               ;   in Loop: Header=BB7_32 Depth=1
	s_mov_b64 s[10:11], 0
	v_pk_mov_b32 v[16:17], 0, 0
	s_mov_b64 s[12:13], 0
.LBB7_66:                               ;   Parent Loop BB7_32 Depth=1
                                        ; =>  This Inner Loop Header: Depth=2
	s_add_u32 s16, s0, s12
	s_addc_u32 s17, s1, s13
	global_load_ubyte v6, v29, s[16:17]
	s_add_u32 s12, s12, 1
	s_addc_u32 s13, s13, 0
	s_waitcnt vmcnt(0)
	v_and_b32_e32 v28, 0xffff, v6
	v_lshlrev_b64 v[6:7], s10, v[28:29]
	s_add_u32 s10, s10, 8
	s_addc_u32 s11, s11, 0
	v_or_b32_e32 v16, v6, v16
	s_cmp_lg_u32 s15, s12
	v_or_b32_e32 v17, v7, v17
	s_cbranch_scc1 .LBB7_66
	s_branch .LBB7_69
.LBB7_67:                               ;   in Loop: Header=BB7_32 Depth=1
                                        ; implicit-def: $sgpr14
	s_branch .LBB7_70
.LBB7_68:                               ;   in Loop: Header=BB7_32 Depth=1
	v_pk_mov_b32 v[16:17], 0, 0
.LBB7_69:                               ;   in Loop: Header=BB7_32 Depth=1
	s_mov_b32 s14, 0
	s_cbranch_execnz .LBB7_71
.LBB7_70:                               ;   in Loop: Header=BB7_32 Depth=1
	global_load_dwordx2 v[16:17], v29, s[0:1]
	s_add_i32 s14, s15, -8
	s_add_u32 s0, s0, 8
	s_addc_u32 s1, s1, 0
.LBB7_71:                               ;   in Loop: Header=BB7_32 Depth=1
	s_cmp_gt_u32 s14, 7
	s_cbranch_scc1 .LBB7_75
; %bb.72:                               ;   in Loop: Header=BB7_32 Depth=1
	s_cmp_eq_u32 s14, 0
	s_cbranch_scc1 .LBB7_76
; %bb.73:                               ;   in Loop: Header=BB7_32 Depth=1
	s_mov_b64 s[10:11], 0
	v_pk_mov_b32 v[18:19], 0, 0
	s_mov_b64 s[12:13], 0
.LBB7_74:                               ;   Parent Loop BB7_32 Depth=1
                                        ; =>  This Inner Loop Header: Depth=2
	s_add_u32 s16, s0, s12
	s_addc_u32 s17, s1, s13
	global_load_ubyte v6, v29, s[16:17]
	s_add_u32 s12, s12, 1
	s_addc_u32 s13, s13, 0
	s_waitcnt vmcnt(0)
	v_and_b32_e32 v28, 0xffff, v6
	v_lshlrev_b64 v[6:7], s10, v[28:29]
	s_add_u32 s10, s10, 8
	s_addc_u32 s11, s11, 0
	v_or_b32_e32 v18, v6, v18
	s_cmp_lg_u32 s14, s12
	v_or_b32_e32 v19, v7, v19
	s_cbranch_scc1 .LBB7_74
	s_branch .LBB7_77
.LBB7_75:                               ;   in Loop: Header=BB7_32 Depth=1
                                        ; implicit-def: $vgpr18_vgpr19
                                        ; implicit-def: $sgpr15
	s_branch .LBB7_78
.LBB7_76:                               ;   in Loop: Header=BB7_32 Depth=1
	v_pk_mov_b32 v[18:19], 0, 0
.LBB7_77:                               ;   in Loop: Header=BB7_32 Depth=1
	s_mov_b32 s15, 0
	s_cbranch_execnz .LBB7_79
.LBB7_78:                               ;   in Loop: Header=BB7_32 Depth=1
	global_load_dwordx2 v[18:19], v29, s[0:1]
	s_add_i32 s15, s14, -8
	s_add_u32 s0, s0, 8
	s_addc_u32 s1, s1, 0
.LBB7_79:                               ;   in Loop: Header=BB7_32 Depth=1
	s_cmp_gt_u32 s15, 7
	s_cbranch_scc1 .LBB7_83
; %bb.80:                               ;   in Loop: Header=BB7_32 Depth=1
	s_cmp_eq_u32 s15, 0
	s_cbranch_scc1 .LBB7_84
; %bb.81:                               ;   in Loop: Header=BB7_32 Depth=1
	s_mov_b64 s[10:11], 0
	v_pk_mov_b32 v[20:21], 0, 0
	s_mov_b64 s[12:13], s[0:1]
.LBB7_82:                               ;   Parent Loop BB7_32 Depth=1
                                        ; =>  This Inner Loop Header: Depth=2
	global_load_ubyte v6, v29, s[12:13]
	s_add_i32 s15, s15, -1
	s_waitcnt vmcnt(0)
	v_and_b32_e32 v28, 0xffff, v6
	v_lshlrev_b64 v[6:7], s10, v[28:29]
	s_add_u32 s10, s10, 8
	s_addc_u32 s11, s11, 0
	s_add_u32 s12, s12, 1
	s_addc_u32 s13, s13, 0
	v_or_b32_e32 v20, v6, v20
	s_cmp_lg_u32 s15, 0
	v_or_b32_e32 v21, v7, v21
	s_cbranch_scc1 .LBB7_82
	s_branch .LBB7_85
.LBB7_83:                               ;   in Loop: Header=BB7_32 Depth=1
	s_branch .LBB7_86
.LBB7_84:                               ;   in Loop: Header=BB7_32 Depth=1
	v_pk_mov_b32 v[20:21], 0, 0
.LBB7_85:                               ;   in Loop: Header=BB7_32 Depth=1
	s_cbranch_execnz .LBB7_87
.LBB7_86:                               ;   in Loop: Header=BB7_32 Depth=1
	global_load_dwordx2 v[20:21], v29, s[0:1]
.LBB7_87:                               ;   in Loop: Header=BB7_32 Depth=1
	v_readfirstlane_b32 s0, v36
	v_cmp_eq_u32_e64 s[0:1], s0, v36
	v_pk_mov_b32 v[6:7], 0, 0
	s_and_saveexec_b64 s[10:11], s[0:1]
	s_cbranch_execz .LBB7_93
; %bb.88:                               ;   in Loop: Header=BB7_32 Depth=1
	global_load_dwordx2 v[24:25], v29, s[2:3] offset:24 glc
	s_waitcnt vmcnt(0)
	buffer_invl2
	buffer_wbinvl1_vol
	global_load_dwordx2 v[6:7], v29, s[2:3] offset:40
	global_load_dwordx2 v[22:23], v29, s[2:3]
	s_waitcnt vmcnt(1)
	v_and_b32_e32 v6, v6, v24
	v_and_b32_e32 v7, v7, v25
	v_mul_lo_u32 v7, v7, 24
	v_mul_hi_u32 v27, v6, 24
	v_mul_lo_u32 v6, v6, 24
	v_add_u32_e32 v7, v27, v7
	s_waitcnt vmcnt(0)
	v_add_co_u32_e32 v6, vcc, v22, v6
	v_addc_co_u32_e32 v7, vcc, v23, v7, vcc
	global_load_dwordx2 v[22:23], v[6:7], off glc
	s_waitcnt vmcnt(0)
	global_atomic_cmpswap_x2 v[6:7], v29, v[22:25], s[2:3] offset:24 glc
	s_waitcnt vmcnt(0)
	buffer_invl2
	buffer_wbinvl1_vol
	v_cmp_ne_u64_e32 vcc, v[6:7], v[24:25]
	s_and_saveexec_b64 s[12:13], vcc
	s_cbranch_execz .LBB7_92
; %bb.89:                               ;   in Loop: Header=BB7_32 Depth=1
	s_mov_b64 s[14:15], 0
.LBB7_90:                               ;   Parent Loop BB7_32 Depth=1
                                        ; =>  This Inner Loop Header: Depth=2
	s_sleep 1
	global_load_dwordx2 v[22:23], v29, s[2:3] offset:40
	global_load_dwordx2 v[30:31], v29, s[2:3]
	v_pk_mov_b32 v[24:25], v[6:7], v[6:7] op_sel:[0,1]
	s_waitcnt vmcnt(1)
	v_and_b32_e32 v6, v22, v24
	s_waitcnt vmcnt(0)
	v_mad_u64_u32 v[6:7], s[16:17], v6, 24, v[30:31]
	v_and_b32_e32 v23, v23, v25
	v_mov_b32_e32 v22, v7
	v_mad_u64_u32 v[22:23], s[16:17], v23, 24, v[22:23]
	v_mov_b32_e32 v7, v22
	global_load_dwordx2 v[22:23], v[6:7], off glc
	s_waitcnt vmcnt(0)
	global_atomic_cmpswap_x2 v[6:7], v29, v[22:25], s[2:3] offset:24 glc
	s_waitcnt vmcnt(0)
	buffer_invl2
	buffer_wbinvl1_vol
	v_cmp_eq_u64_e32 vcc, v[6:7], v[24:25]
	s_or_b64 s[14:15], vcc, s[14:15]
	s_andn2_b64 exec, exec, s[14:15]
	s_cbranch_execnz .LBB7_90
; %bb.91:                               ;   in Loop: Header=BB7_32 Depth=1
	s_or_b64 exec, exec, s[14:15]
.LBB7_92:                               ;   in Loop: Header=BB7_32 Depth=1
	s_or_b64 exec, exec, s[12:13]
.LBB7_93:                               ;   in Loop: Header=BB7_32 Depth=1
	s_or_b64 exec, exec, s[10:11]
	global_load_dwordx2 v[30:31], v29, s[2:3] offset:40
	global_load_dwordx4 v[22:25], v29, s[2:3]
	v_readfirstlane_b32 s10, v6
	v_readfirstlane_b32 s11, v7
	s_mov_b64 s[12:13], exec
	s_waitcnt vmcnt(1)
	v_readfirstlane_b32 s14, v30
	v_readfirstlane_b32 s15, v31
	s_and_b64 s[14:15], s[10:11], s[14:15]
	s_mul_i32 s16, s15, 24
	s_mul_hi_u32 s17, s14, 24
	s_mul_i32 s18, s14, 24
	s_add_i32 s16, s17, s16
	v_mov_b32_e32 v6, s16
	s_waitcnt vmcnt(0)
	v_add_co_u32_e32 v30, vcc, s18, v22
	v_addc_co_u32_e32 v31, vcc, v23, v6, vcc
	s_and_saveexec_b64 s[16:17], s[0:1]
	s_cbranch_execz .LBB7_95
; %bb.94:                               ;   in Loop: Header=BB7_32 Depth=1
	v_pk_mov_b32 v[6:7], s[12:13], s[12:13] op_sel:[0,1]
	global_store_dwordx4 v[30:31], v[6:9], off offset:8
.LBB7_95:                               ;   in Loop: Header=BB7_32 Depth=1
	s_or_b64 exec, exec, s[16:17]
	s_lshl_b64 s[12:13], s[14:15], 12
	v_mov_b32_e32 v7, s13
	v_add_co_u32_e32 v6, vcc, s12, v24
	v_addc_co_u32_e32 v7, vcc, v25, v7, vcc
	v_or_b32_e32 v25, v0, v26
	v_cmp_gt_u64_e64 vcc, s[6:7], 56
	s_lshl_b32 s12, s8, 2
	v_cndmask_b32_e32 v0, v25, v0, vcc
	s_add_i32 s12, s12, 28
	v_or_b32_e32 v24, 0, v1
	s_and_b32 s12, s12, 0x1e0
	v_and_b32_e32 v0, 0xffffff1f, v0
	v_cndmask_b32_e32 v1, v24, v1, vcc
	v_or_b32_e32 v0, s12, v0
	v_readfirstlane_b32 s12, v6
	v_readfirstlane_b32 s13, v7
	s_nop 4
	global_store_dwordx4 v35, v[0:3], s[12:13]
	global_store_dwordx4 v35, v[10:13], s[12:13] offset:16
	global_store_dwordx4 v35, v[14:17], s[12:13] offset:32
	;; [unrolled: 1-line block ×3, first 2 shown]
	s_and_saveexec_b64 s[12:13], s[0:1]
	s_cbranch_execz .LBB7_103
; %bb.96:                               ;   in Loop: Header=BB7_32 Depth=1
	global_load_dwordx2 v[14:15], v29, s[2:3] offset:32 glc
	global_load_dwordx2 v[0:1], v29, s[2:3] offset:40
	v_mov_b32_e32 v12, s10
	v_mov_b32_e32 v13, s11
	s_waitcnt vmcnt(0)
	v_readfirstlane_b32 s14, v0
	v_readfirstlane_b32 s15, v1
	s_and_b64 s[14:15], s[14:15], s[10:11]
	s_mul_i32 s15, s15, 24
	s_mul_hi_u32 s16, s14, 24
	s_mul_i32 s14, s14, 24
	s_add_i32 s15, s16, s15
	v_mov_b32_e32 v0, s15
	v_add_co_u32_e32 v10, vcc, s14, v22
	v_addc_co_u32_e32 v11, vcc, v23, v0, vcc
	global_store_dwordx2 v[10:11], v[14:15], off
	buffer_wbl2
	s_waitcnt vmcnt(0)
	global_atomic_cmpswap_x2 v[2:3], v29, v[12:15], s[2:3] offset:32 glc
	s_waitcnt vmcnt(0)
	v_cmp_ne_u64_e32 vcc, v[2:3], v[14:15]
	s_and_saveexec_b64 s[14:15], vcc
	s_cbranch_execz .LBB7_99
; %bb.97:                               ;   in Loop: Header=BB7_32 Depth=1
	s_mov_b64 s[16:17], 0
.LBB7_98:                               ;   Parent Loop BB7_32 Depth=1
                                        ; =>  This Inner Loop Header: Depth=2
	s_sleep 1
	global_store_dwordx2 v[10:11], v[2:3], off
	v_mov_b32_e32 v0, s10
	v_mov_b32_e32 v1, s11
	buffer_wbl2
	s_waitcnt vmcnt(0)
	global_atomic_cmpswap_x2 v[0:1], v29, v[0:3], s[2:3] offset:32 glc
	s_waitcnt vmcnt(0)
	v_cmp_eq_u64_e32 vcc, v[0:1], v[2:3]
	s_or_b64 s[16:17], vcc, s[16:17]
	v_pk_mov_b32 v[2:3], v[0:1], v[0:1] op_sel:[0,1]
	s_andn2_b64 exec, exec, s[16:17]
	s_cbranch_execnz .LBB7_98
.LBB7_99:                               ;   in Loop: Header=BB7_32 Depth=1
	s_or_b64 exec, exec, s[14:15]
	global_load_dwordx2 v[0:1], v29, s[2:3] offset:16
	s_mov_b64 s[16:17], exec
	v_mbcnt_lo_u32_b32 v2, s16, 0
	v_mbcnt_hi_u32_b32 v2, s17, v2
	v_cmp_eq_u32_e32 vcc, 0, v2
	s_and_saveexec_b64 s[14:15], vcc
	s_cbranch_execz .LBB7_101
; %bb.100:                              ;   in Loop: Header=BB7_32 Depth=1
	s_bcnt1_i32_b64 s16, s[16:17]
	v_mov_b32_e32 v28, s16
	buffer_wbl2
	s_waitcnt vmcnt(0)
	global_atomic_add_x2 v[0:1], v[28:29], off offset:8
.LBB7_101:                              ;   in Loop: Header=BB7_32 Depth=1
	s_or_b64 exec, exec, s[14:15]
	s_waitcnt vmcnt(0)
	global_load_dwordx2 v[2:3], v[0:1], off offset:16
	s_waitcnt vmcnt(0)
	v_cmp_eq_u64_e32 vcc, 0, v[2:3]
	s_cbranch_vccnz .LBB7_103
; %bb.102:                              ;   in Loop: Header=BB7_32 Depth=1
	global_load_dword v28, v[0:1], off offset:24
	s_waitcnt vmcnt(0)
	v_and_b32_e32 v0, 0xffffff, v28
	v_readfirstlane_b32 m0, v0
	buffer_wbl2
	global_store_dwordx2 v[2:3], v[28:29], off
	s_sendmsg sendmsg(MSG_INTERRUPT)
.LBB7_103:                              ;   in Loop: Header=BB7_32 Depth=1
	s_or_b64 exec, exec, s[12:13]
	v_add_co_u32_e32 v0, vcc, v6, v35
	v_addc_co_u32_e32 v1, vcc, 0, v7, vcc
	s_branch .LBB7_107
.LBB7_104:                              ;   in Loop: Header=BB7_107 Depth=2
	s_or_b64 exec, exec, s[12:13]
	v_readfirstlane_b32 s12, v2
	s_cmp_eq_u32 s12, 0
	s_cbranch_scc1 .LBB7_106
; %bb.105:                              ;   in Loop: Header=BB7_107 Depth=2
	s_sleep 1
	s_cbranch_execnz .LBB7_107
	s_branch .LBB7_109
.LBB7_106:                              ;   in Loop: Header=BB7_32 Depth=1
	s_branch .LBB7_109
.LBB7_107:                              ;   Parent Loop BB7_32 Depth=1
                                        ; =>  This Inner Loop Header: Depth=2
	v_mov_b32_e32 v2, 1
	s_and_saveexec_b64 s[12:13], s[0:1]
	s_cbranch_execz .LBB7_104
; %bb.108:                              ;   in Loop: Header=BB7_107 Depth=2
	global_load_dword v2, v[30:31], off offset:20 glc
	s_waitcnt vmcnt(0)
	buffer_invl2
	buffer_wbinvl1_vol
	v_and_b32_e32 v2, 1, v2
	s_branch .LBB7_104
.LBB7_109:                              ;   in Loop: Header=BB7_32 Depth=1
	global_load_dwordx4 v[0:3], v[0:1], off
	s_and_saveexec_b64 s[12:13], s[0:1]
	s_cbranch_execz .LBB7_31
; %bb.110:                              ;   in Loop: Header=BB7_32 Depth=1
	global_load_dwordx2 v[2:3], v29, s[2:3] offset:40
	global_load_dwordx2 v[6:7], v29, s[2:3] offset:24 glc
	global_load_dwordx2 v[14:15], v29, s[2:3]
	v_mov_b32_e32 v11, s11
	s_waitcnt vmcnt(2)
	v_add_co_u32_e32 v13, vcc, 1, v2
	v_addc_co_u32_e32 v16, vcc, 0, v3, vcc
	v_add_co_u32_e32 v10, vcc, s10, v13
	v_addc_co_u32_e32 v11, vcc, v16, v11, vcc
	v_cmp_eq_u64_e32 vcc, 0, v[10:11]
	v_cndmask_b32_e32 v11, v11, v16, vcc
	v_cndmask_b32_e32 v10, v10, v13, vcc
	v_and_b32_e32 v3, v11, v3
	v_and_b32_e32 v2, v10, v2
	v_mul_lo_u32 v3, v3, 24
	v_mul_hi_u32 v13, v2, 24
	v_mul_lo_u32 v2, v2, 24
	v_add_u32_e32 v3, v13, v3
	s_waitcnt vmcnt(0)
	v_add_co_u32_e32 v2, vcc, v14, v2
	v_addc_co_u32_e32 v3, vcc, v15, v3, vcc
	v_mov_b32_e32 v12, v6
	global_store_dwordx2 v[2:3], v[6:7], off
	v_mov_b32_e32 v13, v7
	buffer_wbl2
	s_waitcnt vmcnt(0)
	global_atomic_cmpswap_x2 v[12:13], v29, v[10:13], s[2:3] offset:24 glc
	s_waitcnt vmcnt(0)
	v_cmp_ne_u64_e32 vcc, v[12:13], v[6:7]
	s_and_b64 exec, exec, vcc
	s_cbranch_execz .LBB7_31
; %bb.111:                              ;   in Loop: Header=BB7_32 Depth=1
	s_mov_b64 s[0:1], 0
.LBB7_112:                              ;   Parent Loop BB7_32 Depth=1
                                        ; =>  This Inner Loop Header: Depth=2
	s_sleep 1
	global_store_dwordx2 v[2:3], v[12:13], off
	buffer_wbl2
	s_waitcnt vmcnt(0)
	global_atomic_cmpswap_x2 v[6:7], v29, v[10:13], s[2:3] offset:24 glc
	s_waitcnt vmcnt(0)
	v_cmp_eq_u64_e32 vcc, v[6:7], v[12:13]
	s_or_b64 s[0:1], vcc, s[0:1]
	v_pk_mov_b32 v[12:13], v[6:7], v[6:7] op_sel:[0,1]
	s_andn2_b64 exec, exec, s[0:1]
	s_cbranch_execnz .LBB7_112
	s_branch .LBB7_31
.LBB7_113:
	s_branch .LBB7_141
.LBB7_114:
                                        ; implicit-def: $vgpr0_vgpr1
	s_cbranch_execz .LBB7_141
; %bb.115:
	v_readfirstlane_b32 s0, v36
	v_cmp_eq_u32_e64 s[0:1], s0, v36
	v_pk_mov_b32 v[8:9], 0, 0
	s_and_saveexec_b64 s[4:5], s[0:1]
	s_cbranch_execz .LBB7_121
; %bb.116:
	s_waitcnt vmcnt(0)
	v_mov_b32_e32 v0, 0
	global_load_dwordx2 v[10:11], v0, s[2:3] offset:24 glc
	s_waitcnt vmcnt(0)
	buffer_invl2
	buffer_wbinvl1_vol
	global_load_dwordx2 v[2:3], v0, s[2:3] offset:40
	global_load_dwordx2 v[6:7], v0, s[2:3]
	s_waitcnt vmcnt(1)
	v_and_b32_e32 v1, v2, v10
	v_and_b32_e32 v2, v3, v11
	v_mul_lo_u32 v2, v2, 24
	v_mul_hi_u32 v3, v1, 24
	v_mul_lo_u32 v1, v1, 24
	v_add_u32_e32 v3, v3, v2
	s_waitcnt vmcnt(0)
	v_add_co_u32_e32 v2, vcc, v6, v1
	v_addc_co_u32_e32 v3, vcc, v7, v3, vcc
	global_load_dwordx2 v[8:9], v[2:3], off glc
	s_waitcnt vmcnt(0)
	global_atomic_cmpswap_x2 v[8:9], v0, v[8:11], s[2:3] offset:24 glc
	s_waitcnt vmcnt(0)
	buffer_invl2
	buffer_wbinvl1_vol
	v_cmp_ne_u64_e32 vcc, v[8:9], v[10:11]
	s_and_saveexec_b64 s[6:7], vcc
	s_cbranch_execz .LBB7_120
; %bb.117:
	s_mov_b64 s[8:9], 0
.LBB7_118:                              ; =>This Inner Loop Header: Depth=1
	s_sleep 1
	global_load_dwordx2 v[2:3], v0, s[2:3] offset:40
	global_load_dwordx2 v[6:7], v0, s[2:3]
	v_pk_mov_b32 v[10:11], v[8:9], v[8:9] op_sel:[0,1]
	s_waitcnt vmcnt(1)
	v_and_b32_e32 v2, v2, v10
	v_and_b32_e32 v1, v3, v11
	s_waitcnt vmcnt(0)
	v_mad_u64_u32 v[2:3], s[10:11], v2, 24, v[6:7]
	v_mov_b32_e32 v6, v3
	v_mad_u64_u32 v[6:7], s[10:11], v1, 24, v[6:7]
	v_mov_b32_e32 v3, v6
	global_load_dwordx2 v[8:9], v[2:3], off glc
	s_waitcnt vmcnt(0)
	global_atomic_cmpswap_x2 v[8:9], v0, v[8:11], s[2:3] offset:24 glc
	s_waitcnt vmcnt(0)
	buffer_invl2
	buffer_wbinvl1_vol
	v_cmp_eq_u64_e32 vcc, v[8:9], v[10:11]
	s_or_b64 s[8:9], vcc, s[8:9]
	s_andn2_b64 exec, exec, s[8:9]
	s_cbranch_execnz .LBB7_118
; %bb.119:
	s_or_b64 exec, exec, s[8:9]
.LBB7_120:
	s_or_b64 exec, exec, s[6:7]
.LBB7_121:
	s_or_b64 exec, exec, s[4:5]
	v_mov_b32_e32 v6, 0
	global_load_dwordx2 v[10:11], v6, s[2:3] offset:40
	global_load_dwordx4 v[0:3], v6, s[2:3]
	v_readfirstlane_b32 s4, v8
	v_readfirstlane_b32 s5, v9
	s_mov_b64 s[6:7], exec
	s_waitcnt vmcnt(1)
	v_readfirstlane_b32 s8, v10
	v_readfirstlane_b32 s9, v11
	s_and_b64 s[8:9], s[4:5], s[8:9]
	s_mul_i32 s10, s9, 24
	s_mul_hi_u32 s11, s8, 24
	s_mul_i32 s12, s8, 24
	s_add_i32 s10, s11, s10
	v_mov_b32_e32 v7, s10
	s_waitcnt vmcnt(0)
	v_add_co_u32_e32 v8, vcc, s12, v0
	v_addc_co_u32_e32 v9, vcc, v1, v7, vcc
	s_and_saveexec_b64 s[10:11], s[0:1]
	s_cbranch_execz .LBB7_123
; %bb.122:
	v_pk_mov_b32 v[10:11], s[6:7], s[6:7] op_sel:[0,1]
	v_mov_b32_e32 v12, 2
	v_mov_b32_e32 v13, 1
	global_store_dwordx4 v[8:9], v[10:13], off offset:8
.LBB7_123:
	s_or_b64 exec, exec, s[10:11]
	s_lshl_b64 s[6:7], s[8:9], 12
	v_mov_b32_e32 v7, s7
	v_add_co_u32_e32 v2, vcc, s6, v2
	v_addc_co_u32_e32 v3, vcc, v3, v7, vcc
	s_movk_i32 s6, 0xff1f
	s_mov_b32 s8, 0
	v_and_or_b32 v4, v4, s6, 32
	v_add_co_u32_e32 v10, vcc, v2, v35
	v_mov_b32_e32 v7, v6
	v_readfirstlane_b32 s6, v2
	v_readfirstlane_b32 s7, v3
	s_mov_b32 s9, s8
	v_addc_co_u32_e32 v11, vcc, 0, v3, vcc
	s_mov_b32 s10, s8
	s_mov_b32 s11, s8
	s_nop 0
	global_store_dwordx4 v35, v[4:7], s[6:7]
	v_pk_mov_b32 v[2:3], s[8:9], s[8:9] op_sel:[0,1]
	v_pk_mov_b32 v[4:5], s[10:11], s[10:11] op_sel:[0,1]
	global_store_dwordx4 v35, v[2:5], s[6:7] offset:16
	global_store_dwordx4 v35, v[2:5], s[6:7] offset:32
	;; [unrolled: 1-line block ×3, first 2 shown]
	s_and_saveexec_b64 s[6:7], s[0:1]
	s_cbranch_execz .LBB7_131
; %bb.124:
	v_mov_b32_e32 v6, 0
	global_load_dwordx2 v[14:15], v6, s[2:3] offset:32 glc
	global_load_dwordx2 v[2:3], v6, s[2:3] offset:40
	v_mov_b32_e32 v12, s4
	v_mov_b32_e32 v13, s5
	s_waitcnt vmcnt(0)
	v_readfirstlane_b32 s8, v2
	v_readfirstlane_b32 s9, v3
	s_and_b64 s[8:9], s[8:9], s[4:5]
	s_mul_i32 s9, s9, 24
	s_mul_hi_u32 s10, s8, 24
	s_mul_i32 s8, s8, 24
	s_add_i32 s9, s10, s9
	v_mov_b32_e32 v2, s9
	v_add_co_u32_e32 v4, vcc, s8, v0
	v_addc_co_u32_e32 v5, vcc, v1, v2, vcc
	global_store_dwordx2 v[4:5], v[14:15], off
	buffer_wbl2
	s_waitcnt vmcnt(0)
	global_atomic_cmpswap_x2 v[2:3], v6, v[12:15], s[2:3] offset:32 glc
	s_waitcnt vmcnt(0)
	v_cmp_ne_u64_e32 vcc, v[2:3], v[14:15]
	s_and_saveexec_b64 s[8:9], vcc
	s_cbranch_execz .LBB7_127
; %bb.125:
	s_mov_b64 s[10:11], 0
.LBB7_126:                              ; =>This Inner Loop Header: Depth=1
	s_sleep 1
	global_store_dwordx2 v[4:5], v[2:3], off
	v_mov_b32_e32 v0, s4
	v_mov_b32_e32 v1, s5
	buffer_wbl2
	s_waitcnt vmcnt(0)
	global_atomic_cmpswap_x2 v[0:1], v6, v[0:3], s[2:3] offset:32 glc
	s_waitcnt vmcnt(0)
	v_cmp_eq_u64_e32 vcc, v[0:1], v[2:3]
	s_or_b64 s[10:11], vcc, s[10:11]
	v_pk_mov_b32 v[2:3], v[0:1], v[0:1] op_sel:[0,1]
	s_andn2_b64 exec, exec, s[10:11]
	s_cbranch_execnz .LBB7_126
.LBB7_127:
	s_or_b64 exec, exec, s[8:9]
	v_mov_b32_e32 v3, 0
	global_load_dwordx2 v[0:1], v3, s[2:3] offset:16
	s_mov_b64 s[8:9], exec
	v_mbcnt_lo_u32_b32 v2, s8, 0
	v_mbcnt_hi_u32_b32 v2, s9, v2
	v_cmp_eq_u32_e32 vcc, 0, v2
	s_and_saveexec_b64 s[10:11], vcc
	s_cbranch_execz .LBB7_129
; %bb.128:
	s_bcnt1_i32_b64 s8, s[8:9]
	v_mov_b32_e32 v2, s8
	buffer_wbl2
	s_waitcnt vmcnt(0)
	global_atomic_add_x2 v[0:1], v[2:3], off offset:8
.LBB7_129:
	s_or_b64 exec, exec, s[10:11]
	s_waitcnt vmcnt(0)
	global_load_dwordx2 v[2:3], v[0:1], off offset:16
	s_waitcnt vmcnt(0)
	v_cmp_eq_u64_e32 vcc, 0, v[2:3]
	s_cbranch_vccnz .LBB7_131
; %bb.130:
	global_load_dword v0, v[0:1], off offset:24
	v_mov_b32_e32 v1, 0
	buffer_wbl2
	s_waitcnt vmcnt(0)
	global_store_dwordx2 v[2:3], v[0:1], off
	v_and_b32_e32 v0, 0xffffff, v0
	v_readfirstlane_b32 m0, v0
	s_sendmsg sendmsg(MSG_INTERRUPT)
.LBB7_131:
	s_or_b64 exec, exec, s[6:7]
	s_branch .LBB7_135
.LBB7_132:                              ;   in Loop: Header=BB7_135 Depth=1
	s_or_b64 exec, exec, s[6:7]
	v_readfirstlane_b32 s6, v0
	s_cmp_eq_u32 s6, 0
	s_cbranch_scc1 .LBB7_134
; %bb.133:                              ;   in Loop: Header=BB7_135 Depth=1
	s_sleep 1
	s_cbranch_execnz .LBB7_135
	s_branch .LBB7_137
.LBB7_134:
	s_branch .LBB7_137
.LBB7_135:                              ; =>This Inner Loop Header: Depth=1
	v_mov_b32_e32 v0, 1
	s_and_saveexec_b64 s[6:7], s[0:1]
	s_cbranch_execz .LBB7_132
; %bb.136:                              ;   in Loop: Header=BB7_135 Depth=1
	global_load_dword v0, v[8:9], off offset:20 glc
	s_waitcnt vmcnt(0)
	buffer_invl2
	buffer_wbinvl1_vol
	v_and_b32_e32 v0, 1, v0
	s_branch .LBB7_132
.LBB7_137:
	global_load_dwordx2 v[0:1], v[10:11], off
	s_and_saveexec_b64 s[6:7], s[0:1]
	s_cbranch_execz .LBB7_140
; %bb.138:
	v_mov_b32_e32 v8, 0
	global_load_dwordx2 v[6:7], v8, s[2:3] offset:40
	global_load_dwordx2 v[10:11], v8, s[2:3] offset:24 glc
	global_load_dwordx2 v[12:13], v8, s[2:3]
	v_mov_b32_e32 v3, s5
	s_mov_b64 s[0:1], 0
	s_waitcnt vmcnt(2)
	v_add_co_u32_e32 v5, vcc, 1, v6
	v_addc_co_u32_e32 v9, vcc, 0, v7, vcc
	v_add_co_u32_e32 v2, vcc, s4, v5
	v_addc_co_u32_e32 v3, vcc, v9, v3, vcc
	v_cmp_eq_u64_e32 vcc, 0, v[2:3]
	v_cndmask_b32_e32 v3, v3, v9, vcc
	v_cndmask_b32_e32 v2, v2, v5, vcc
	v_and_b32_e32 v5, v3, v7
	v_and_b32_e32 v6, v2, v6
	v_mul_lo_u32 v5, v5, 24
	v_mul_hi_u32 v7, v6, 24
	v_mul_lo_u32 v6, v6, 24
	v_add_u32_e32 v5, v7, v5
	s_waitcnt vmcnt(0)
	v_add_co_u32_e32 v6, vcc, v12, v6
	v_addc_co_u32_e32 v7, vcc, v13, v5, vcc
	v_mov_b32_e32 v4, v10
	global_store_dwordx2 v[6:7], v[10:11], off
	v_mov_b32_e32 v5, v11
	buffer_wbl2
	s_waitcnt vmcnt(0)
	global_atomic_cmpswap_x2 v[4:5], v8, v[2:5], s[2:3] offset:24 glc
	s_waitcnt vmcnt(0)
	v_cmp_ne_u64_e32 vcc, v[4:5], v[10:11]
	s_and_b64 exec, exec, vcc
	s_cbranch_execz .LBB7_140
.LBB7_139:                              ; =>This Inner Loop Header: Depth=1
	s_sleep 1
	global_store_dwordx2 v[6:7], v[4:5], off
	buffer_wbl2
	s_waitcnt vmcnt(0)
	global_atomic_cmpswap_x2 v[10:11], v8, v[2:5], s[2:3] offset:24 glc
	s_waitcnt vmcnt(0)
	v_cmp_eq_u64_e32 vcc, v[10:11], v[4:5]
	s_or_b64 s[0:1], vcc, s[0:1]
	v_pk_mov_b32 v[4:5], v[10:11], v[10:11] op_sel:[0,1]
	s_andn2_b64 exec, exec, s[0:1]
	s_cbranch_execnz .LBB7_139
.LBB7_140:
	s_or_b64 exec, exec, s[6:7]
.LBB7_141:
	s_getpc_b64 s[4:5]
	s_add_u32 s4, s4, .str.10@rel32@lo+4
	s_addc_u32 s5, s5, .str.10@rel32@hi+12
	s_cmp_lg_u64 s[4:5], 0
	s_cbranch_scc0 .LBB7_226
; %bb.142:
	s_waitcnt vmcnt(0)
	v_and_b32_e32 v28, 2, v0
	v_mov_b32_e32 v31, 0
	v_and_b32_e32 v2, -3, v0
	v_mov_b32_e32 v3, v1
	s_mov_b64 s[6:7], 52
	v_mov_b32_e32 v6, 2
	v_mov_b32_e32 v7, 1
	s_branch .LBB7_144
.LBB7_143:                              ;   in Loop: Header=BB7_144 Depth=1
	s_or_b64 exec, exec, s[12:13]
	s_sub_u32 s6, s6, s8
	s_subb_u32 s7, s7, s9
	s_add_u32 s4, s4, s8
	s_addc_u32 s5, s5, s9
	s_cmp_lg_u64 s[6:7], 0
	s_cbranch_scc0 .LBB7_225
.LBB7_144:                              ; =>This Loop Header: Depth=1
                                        ;     Child Loop BB7_147 Depth 2
                                        ;     Child Loop BB7_154 Depth 2
	;; [unrolled: 1-line block ×11, first 2 shown]
	v_cmp_lt_u64_e64 s[0:1], s[6:7], 56
	s_and_b64 s[0:1], s[0:1], exec
	v_cmp_gt_u64_e64 s[0:1], s[6:7], 7
	s_cselect_b32 s9, s7, 0
	s_cselect_b32 s8, s6, 56
	s_and_b64 vcc, exec, s[0:1]
	s_cbranch_vccnz .LBB7_149
; %bb.145:                              ;   in Loop: Header=BB7_144 Depth=1
	s_mov_b64 s[0:1], 0
	s_cmp_eq_u64 s[6:7], 0
	v_pk_mov_b32 v[10:11], 0, 0
	s_cbranch_scc1 .LBB7_148
; %bb.146:                              ;   in Loop: Header=BB7_144 Depth=1
	s_lshl_b64 s[10:11], s[8:9], 3
	s_mov_b64 s[12:13], 0
	v_pk_mov_b32 v[10:11], 0, 0
	s_mov_b64 s[14:15], s[4:5]
.LBB7_147:                              ;   Parent Loop BB7_144 Depth=1
                                        ; =>  This Inner Loop Header: Depth=2
	global_load_ubyte v4, v31, s[14:15]
	s_waitcnt vmcnt(0)
	v_and_b32_e32 v30, 0xffff, v4
	v_lshlrev_b64 v[4:5], s12, v[30:31]
	s_add_u32 s12, s12, 8
	s_addc_u32 s13, s13, 0
	s_add_u32 s14, s14, 1
	s_addc_u32 s15, s15, 0
	v_or_b32_e32 v10, v4, v10
	s_cmp_lg_u32 s10, s12
	v_or_b32_e32 v11, v5, v11
	s_cbranch_scc1 .LBB7_147
.LBB7_148:                              ;   in Loop: Header=BB7_144 Depth=1
	s_mov_b32 s14, 0
	s_andn2_b64 vcc, exec, s[0:1]
	s_mov_b64 s[0:1], s[4:5]
	s_cbranch_vccz .LBB7_150
	s_branch .LBB7_151
.LBB7_149:                              ;   in Loop: Header=BB7_144 Depth=1
                                        ; implicit-def: $vgpr10_vgpr11
                                        ; implicit-def: $sgpr14
	s_mov_b64 s[0:1], s[4:5]
.LBB7_150:                              ;   in Loop: Header=BB7_144 Depth=1
	global_load_dwordx2 v[10:11], v31, s[4:5]
	s_add_i32 s14, s8, -8
	s_add_u32 s0, s4, 8
	s_addc_u32 s1, s5, 0
.LBB7_151:                              ;   in Loop: Header=BB7_144 Depth=1
	s_cmp_gt_u32 s14, 7
	s_cbranch_scc1 .LBB7_155
; %bb.152:                              ;   in Loop: Header=BB7_144 Depth=1
	s_cmp_eq_u32 s14, 0
	s_cbranch_scc1 .LBB7_156
; %bb.153:                              ;   in Loop: Header=BB7_144 Depth=1
	s_mov_b64 s[10:11], 0
	v_pk_mov_b32 v[12:13], 0, 0
	s_mov_b64 s[12:13], 0
.LBB7_154:                              ;   Parent Loop BB7_144 Depth=1
                                        ; =>  This Inner Loop Header: Depth=2
	s_add_u32 s16, s0, s12
	s_addc_u32 s17, s1, s13
	global_load_ubyte v4, v31, s[16:17]
	s_add_u32 s12, s12, 1
	s_addc_u32 s13, s13, 0
	s_waitcnt vmcnt(0)
	v_and_b32_e32 v30, 0xffff, v4
	v_lshlrev_b64 v[4:5], s10, v[30:31]
	s_add_u32 s10, s10, 8
	s_addc_u32 s11, s11, 0
	v_or_b32_e32 v12, v4, v12
	s_cmp_lg_u32 s14, s12
	v_or_b32_e32 v13, v5, v13
	s_cbranch_scc1 .LBB7_154
	s_branch .LBB7_157
.LBB7_155:                              ;   in Loop: Header=BB7_144 Depth=1
                                        ; implicit-def: $vgpr12_vgpr13
                                        ; implicit-def: $sgpr15
	s_branch .LBB7_158
.LBB7_156:                              ;   in Loop: Header=BB7_144 Depth=1
	v_pk_mov_b32 v[12:13], 0, 0
.LBB7_157:                              ;   in Loop: Header=BB7_144 Depth=1
	s_mov_b32 s15, 0
	s_cbranch_execnz .LBB7_159
.LBB7_158:                              ;   in Loop: Header=BB7_144 Depth=1
	global_load_dwordx2 v[12:13], v31, s[0:1]
	s_add_i32 s15, s14, -8
	s_add_u32 s0, s0, 8
	s_addc_u32 s1, s1, 0
.LBB7_159:                              ;   in Loop: Header=BB7_144 Depth=1
	s_cmp_gt_u32 s15, 7
	s_cbranch_scc1 .LBB7_163
; %bb.160:                              ;   in Loop: Header=BB7_144 Depth=1
	s_cmp_eq_u32 s15, 0
	s_cbranch_scc1 .LBB7_164
; %bb.161:                              ;   in Loop: Header=BB7_144 Depth=1
	s_mov_b64 s[10:11], 0
	v_pk_mov_b32 v[14:15], 0, 0
	s_mov_b64 s[12:13], 0
.LBB7_162:                              ;   Parent Loop BB7_144 Depth=1
                                        ; =>  This Inner Loop Header: Depth=2
	s_add_u32 s16, s0, s12
	s_addc_u32 s17, s1, s13
	global_load_ubyte v4, v31, s[16:17]
	s_add_u32 s12, s12, 1
	s_addc_u32 s13, s13, 0
	s_waitcnt vmcnt(0)
	v_and_b32_e32 v30, 0xffff, v4
	v_lshlrev_b64 v[4:5], s10, v[30:31]
	s_add_u32 s10, s10, 8
	s_addc_u32 s11, s11, 0
	v_or_b32_e32 v14, v4, v14
	s_cmp_lg_u32 s15, s12
	v_or_b32_e32 v15, v5, v15
	s_cbranch_scc1 .LBB7_162
	s_branch .LBB7_165
.LBB7_163:                              ;   in Loop: Header=BB7_144 Depth=1
                                        ; implicit-def: $sgpr14
	s_branch .LBB7_166
.LBB7_164:                              ;   in Loop: Header=BB7_144 Depth=1
	v_pk_mov_b32 v[14:15], 0, 0
.LBB7_165:                              ;   in Loop: Header=BB7_144 Depth=1
	s_mov_b32 s14, 0
	s_cbranch_execnz .LBB7_167
.LBB7_166:                              ;   in Loop: Header=BB7_144 Depth=1
	global_load_dwordx2 v[14:15], v31, s[0:1]
	s_add_i32 s14, s15, -8
	s_add_u32 s0, s0, 8
	s_addc_u32 s1, s1, 0
.LBB7_167:                              ;   in Loop: Header=BB7_144 Depth=1
	s_cmp_gt_u32 s14, 7
	s_cbranch_scc1 .LBB7_171
; %bb.168:                              ;   in Loop: Header=BB7_144 Depth=1
	s_cmp_eq_u32 s14, 0
	s_cbranch_scc1 .LBB7_172
; %bb.169:                              ;   in Loop: Header=BB7_144 Depth=1
	s_mov_b64 s[10:11], 0
	v_pk_mov_b32 v[16:17], 0, 0
	s_mov_b64 s[12:13], 0
.LBB7_170:                              ;   Parent Loop BB7_144 Depth=1
                                        ; =>  This Inner Loop Header: Depth=2
	s_add_u32 s16, s0, s12
	s_addc_u32 s17, s1, s13
	global_load_ubyte v4, v31, s[16:17]
	s_add_u32 s12, s12, 1
	s_addc_u32 s13, s13, 0
	s_waitcnt vmcnt(0)
	v_and_b32_e32 v30, 0xffff, v4
	v_lshlrev_b64 v[4:5], s10, v[30:31]
	s_add_u32 s10, s10, 8
	s_addc_u32 s11, s11, 0
	v_or_b32_e32 v16, v4, v16
	s_cmp_lg_u32 s14, s12
	v_or_b32_e32 v17, v5, v17
	s_cbranch_scc1 .LBB7_170
	s_branch .LBB7_173
.LBB7_171:                              ;   in Loop: Header=BB7_144 Depth=1
                                        ; implicit-def: $vgpr16_vgpr17
                                        ; implicit-def: $sgpr15
	s_branch .LBB7_174
.LBB7_172:                              ;   in Loop: Header=BB7_144 Depth=1
	v_pk_mov_b32 v[16:17], 0, 0
.LBB7_173:                              ;   in Loop: Header=BB7_144 Depth=1
	s_mov_b32 s15, 0
	s_cbranch_execnz .LBB7_175
.LBB7_174:                              ;   in Loop: Header=BB7_144 Depth=1
	global_load_dwordx2 v[16:17], v31, s[0:1]
	s_add_i32 s15, s14, -8
	s_add_u32 s0, s0, 8
	s_addc_u32 s1, s1, 0
.LBB7_175:                              ;   in Loop: Header=BB7_144 Depth=1
	s_cmp_gt_u32 s15, 7
	s_cbranch_scc1 .LBB7_179
; %bb.176:                              ;   in Loop: Header=BB7_144 Depth=1
	s_cmp_eq_u32 s15, 0
	s_cbranch_scc1 .LBB7_180
; %bb.177:                              ;   in Loop: Header=BB7_144 Depth=1
	s_mov_b64 s[10:11], 0
	v_pk_mov_b32 v[18:19], 0, 0
	s_mov_b64 s[12:13], 0
.LBB7_178:                              ;   Parent Loop BB7_144 Depth=1
                                        ; =>  This Inner Loop Header: Depth=2
	s_add_u32 s16, s0, s12
	s_addc_u32 s17, s1, s13
	global_load_ubyte v4, v31, s[16:17]
	s_add_u32 s12, s12, 1
	s_addc_u32 s13, s13, 0
	s_waitcnt vmcnt(0)
	v_and_b32_e32 v30, 0xffff, v4
	v_lshlrev_b64 v[4:5], s10, v[30:31]
	s_add_u32 s10, s10, 8
	s_addc_u32 s11, s11, 0
	v_or_b32_e32 v18, v4, v18
	s_cmp_lg_u32 s15, s12
	v_or_b32_e32 v19, v5, v19
	s_cbranch_scc1 .LBB7_178
	s_branch .LBB7_181
.LBB7_179:                              ;   in Loop: Header=BB7_144 Depth=1
                                        ; implicit-def: $sgpr14
	s_branch .LBB7_182
.LBB7_180:                              ;   in Loop: Header=BB7_144 Depth=1
	v_pk_mov_b32 v[18:19], 0, 0
.LBB7_181:                              ;   in Loop: Header=BB7_144 Depth=1
	s_mov_b32 s14, 0
	s_cbranch_execnz .LBB7_183
.LBB7_182:                              ;   in Loop: Header=BB7_144 Depth=1
	global_load_dwordx2 v[18:19], v31, s[0:1]
	s_add_i32 s14, s15, -8
	s_add_u32 s0, s0, 8
	s_addc_u32 s1, s1, 0
.LBB7_183:                              ;   in Loop: Header=BB7_144 Depth=1
	s_cmp_gt_u32 s14, 7
	s_cbranch_scc1 .LBB7_187
; %bb.184:                              ;   in Loop: Header=BB7_144 Depth=1
	s_cmp_eq_u32 s14, 0
	s_cbranch_scc1 .LBB7_188
; %bb.185:                              ;   in Loop: Header=BB7_144 Depth=1
	s_mov_b64 s[10:11], 0
	v_pk_mov_b32 v[20:21], 0, 0
	s_mov_b64 s[12:13], 0
.LBB7_186:                              ;   Parent Loop BB7_144 Depth=1
                                        ; =>  This Inner Loop Header: Depth=2
	s_add_u32 s16, s0, s12
	s_addc_u32 s17, s1, s13
	global_load_ubyte v4, v31, s[16:17]
	s_add_u32 s12, s12, 1
	s_addc_u32 s13, s13, 0
	s_waitcnt vmcnt(0)
	v_and_b32_e32 v30, 0xffff, v4
	v_lshlrev_b64 v[4:5], s10, v[30:31]
	s_add_u32 s10, s10, 8
	s_addc_u32 s11, s11, 0
	v_or_b32_e32 v20, v4, v20
	s_cmp_lg_u32 s14, s12
	v_or_b32_e32 v21, v5, v21
	s_cbranch_scc1 .LBB7_186
	s_branch .LBB7_189
.LBB7_187:                              ;   in Loop: Header=BB7_144 Depth=1
                                        ; implicit-def: $vgpr20_vgpr21
                                        ; implicit-def: $sgpr15
	s_branch .LBB7_190
.LBB7_188:                              ;   in Loop: Header=BB7_144 Depth=1
	v_pk_mov_b32 v[20:21], 0, 0
.LBB7_189:                              ;   in Loop: Header=BB7_144 Depth=1
	s_mov_b32 s15, 0
	s_cbranch_execnz .LBB7_191
.LBB7_190:                              ;   in Loop: Header=BB7_144 Depth=1
	global_load_dwordx2 v[20:21], v31, s[0:1]
	s_add_i32 s15, s14, -8
	s_add_u32 s0, s0, 8
	s_addc_u32 s1, s1, 0
.LBB7_191:                              ;   in Loop: Header=BB7_144 Depth=1
	s_cmp_gt_u32 s15, 7
	s_cbranch_scc1 .LBB7_195
; %bb.192:                              ;   in Loop: Header=BB7_144 Depth=1
	s_cmp_eq_u32 s15, 0
	s_cbranch_scc1 .LBB7_196
; %bb.193:                              ;   in Loop: Header=BB7_144 Depth=1
	s_mov_b64 s[10:11], 0
	v_pk_mov_b32 v[22:23], 0, 0
	s_mov_b64 s[12:13], s[0:1]
.LBB7_194:                              ;   Parent Loop BB7_144 Depth=1
                                        ; =>  This Inner Loop Header: Depth=2
	global_load_ubyte v4, v31, s[12:13]
	s_add_i32 s15, s15, -1
	s_waitcnt vmcnt(0)
	v_and_b32_e32 v30, 0xffff, v4
	v_lshlrev_b64 v[4:5], s10, v[30:31]
	s_add_u32 s10, s10, 8
	s_addc_u32 s11, s11, 0
	s_add_u32 s12, s12, 1
	s_addc_u32 s13, s13, 0
	v_or_b32_e32 v22, v4, v22
	s_cmp_lg_u32 s15, 0
	v_or_b32_e32 v23, v5, v23
	s_cbranch_scc1 .LBB7_194
	s_branch .LBB7_197
.LBB7_195:                              ;   in Loop: Header=BB7_144 Depth=1
	s_branch .LBB7_198
.LBB7_196:                              ;   in Loop: Header=BB7_144 Depth=1
	v_pk_mov_b32 v[22:23], 0, 0
.LBB7_197:                              ;   in Loop: Header=BB7_144 Depth=1
	s_cbranch_execnz .LBB7_199
.LBB7_198:                              ;   in Loop: Header=BB7_144 Depth=1
	global_load_dwordx2 v[22:23], v31, s[0:1]
.LBB7_199:                              ;   in Loop: Header=BB7_144 Depth=1
	v_readfirstlane_b32 s0, v36
	v_cmp_eq_u32_e64 s[0:1], s0, v36
	s_waitcnt vmcnt(0)
	v_pk_mov_b32 v[4:5], 0, 0
	s_and_saveexec_b64 s[10:11], s[0:1]
	s_cbranch_execz .LBB7_205
; %bb.200:                              ;   in Loop: Header=BB7_144 Depth=1
	global_load_dwordx2 v[26:27], v31, s[2:3] offset:24 glc
	s_waitcnt vmcnt(0)
	buffer_invl2
	buffer_wbinvl1_vol
	global_load_dwordx2 v[4:5], v31, s[2:3] offset:40
	global_load_dwordx2 v[8:9], v31, s[2:3]
	s_waitcnt vmcnt(1)
	v_and_b32_e32 v4, v4, v26
	v_and_b32_e32 v5, v5, v27
	v_mul_lo_u32 v5, v5, 24
	v_mul_hi_u32 v24, v4, 24
	v_mul_lo_u32 v4, v4, 24
	v_add_u32_e32 v5, v24, v5
	s_waitcnt vmcnt(0)
	v_add_co_u32_e32 v4, vcc, v8, v4
	v_addc_co_u32_e32 v5, vcc, v9, v5, vcc
	global_load_dwordx2 v[24:25], v[4:5], off glc
	s_waitcnt vmcnt(0)
	global_atomic_cmpswap_x2 v[4:5], v31, v[24:27], s[2:3] offset:24 glc
	s_waitcnt vmcnt(0)
	buffer_invl2
	buffer_wbinvl1_vol
	v_cmp_ne_u64_e32 vcc, v[4:5], v[26:27]
	s_and_saveexec_b64 s[12:13], vcc
	s_cbranch_execz .LBB7_204
; %bb.201:                              ;   in Loop: Header=BB7_144 Depth=1
	s_mov_b64 s[14:15], 0
.LBB7_202:                              ;   Parent Loop BB7_144 Depth=1
                                        ; =>  This Inner Loop Header: Depth=2
	s_sleep 1
	global_load_dwordx2 v[8:9], v31, s[2:3] offset:40
	global_load_dwordx2 v[24:25], v31, s[2:3]
	v_pk_mov_b32 v[26:27], v[4:5], v[4:5] op_sel:[0,1]
	s_waitcnt vmcnt(1)
	v_and_b32_e32 v4, v8, v26
	s_waitcnt vmcnt(0)
	v_mad_u64_u32 v[4:5], s[16:17], v4, 24, v[24:25]
	v_and_b32_e32 v9, v9, v27
	v_mov_b32_e32 v8, v5
	v_mad_u64_u32 v[8:9], s[16:17], v9, 24, v[8:9]
	v_mov_b32_e32 v5, v8
	global_load_dwordx2 v[24:25], v[4:5], off glc
	s_waitcnt vmcnt(0)
	global_atomic_cmpswap_x2 v[4:5], v31, v[24:27], s[2:3] offset:24 glc
	s_waitcnt vmcnt(0)
	buffer_invl2
	buffer_wbinvl1_vol
	v_cmp_eq_u64_e32 vcc, v[4:5], v[26:27]
	s_or_b64 s[14:15], vcc, s[14:15]
	s_andn2_b64 exec, exec, s[14:15]
	s_cbranch_execnz .LBB7_202
; %bb.203:                              ;   in Loop: Header=BB7_144 Depth=1
	s_or_b64 exec, exec, s[14:15]
.LBB7_204:                              ;   in Loop: Header=BB7_144 Depth=1
	s_or_b64 exec, exec, s[12:13]
.LBB7_205:                              ;   in Loop: Header=BB7_144 Depth=1
	s_or_b64 exec, exec, s[10:11]
	global_load_dwordx2 v[8:9], v31, s[2:3] offset:40
	global_load_dwordx4 v[24:27], v31, s[2:3]
	v_readfirstlane_b32 s10, v4
	v_readfirstlane_b32 s11, v5
	s_mov_b64 s[12:13], exec
	s_waitcnt vmcnt(1)
	v_readfirstlane_b32 s14, v8
	v_readfirstlane_b32 s15, v9
	s_and_b64 s[14:15], s[10:11], s[14:15]
	s_mul_i32 s16, s15, 24
	s_mul_hi_u32 s17, s14, 24
	s_mul_i32 s18, s14, 24
	s_add_i32 s16, s17, s16
	v_mov_b32_e32 v4, s16
	s_waitcnt vmcnt(0)
	v_add_co_u32_e32 v32, vcc, s18, v24
	v_addc_co_u32_e32 v33, vcc, v25, v4, vcc
	s_and_saveexec_b64 s[16:17], s[0:1]
	s_cbranch_execz .LBB7_207
; %bb.206:                              ;   in Loop: Header=BB7_144 Depth=1
	v_pk_mov_b32 v[4:5], s[12:13], s[12:13] op_sel:[0,1]
	global_store_dwordx4 v[32:33], v[4:7], off offset:8
.LBB7_207:                              ;   in Loop: Header=BB7_144 Depth=1
	s_or_b64 exec, exec, s[16:17]
	s_lshl_b64 s[12:13], s[14:15], 12
	v_mov_b32_e32 v4, s13
	v_add_co_u32_e32 v26, vcc, s12, v26
	v_addc_co_u32_e32 v27, vcc, v27, v4, vcc
	v_or_b32_e32 v5, v2, v28
	v_cmp_gt_u64_e64 vcc, s[6:7], 56
	s_lshl_b32 s12, s8, 2
	v_cndmask_b32_e32 v2, v5, v2, vcc
	s_add_i32 s12, s12, 28
	v_or_b32_e32 v4, 0, v3
	s_and_b32 s12, s12, 0x1e0
	v_and_b32_e32 v2, 0xffffff1f, v2
	v_cndmask_b32_e32 v9, v4, v3, vcc
	v_or_b32_e32 v8, s12, v2
	v_readfirstlane_b32 s12, v26
	v_readfirstlane_b32 s13, v27
	s_nop 4
	global_store_dwordx4 v35, v[8:11], s[12:13]
	global_store_dwordx4 v35, v[12:15], s[12:13] offset:16
	global_store_dwordx4 v35, v[16:19], s[12:13] offset:32
	;; [unrolled: 1-line block ×3, first 2 shown]
	s_and_saveexec_b64 s[12:13], s[0:1]
	s_cbranch_execz .LBB7_215
; %bb.208:                              ;   in Loop: Header=BB7_144 Depth=1
	global_load_dwordx2 v[12:13], v31, s[2:3] offset:32 glc
	global_load_dwordx2 v[2:3], v31, s[2:3] offset:40
	v_mov_b32_e32 v10, s10
	v_mov_b32_e32 v11, s11
	s_waitcnt vmcnt(0)
	v_readfirstlane_b32 s14, v2
	v_readfirstlane_b32 s15, v3
	s_and_b64 s[14:15], s[14:15], s[10:11]
	s_mul_i32 s15, s15, 24
	s_mul_hi_u32 s16, s14, 24
	s_mul_i32 s14, s14, 24
	s_add_i32 s15, s16, s15
	v_mov_b32_e32 v2, s15
	v_add_co_u32_e32 v8, vcc, s14, v24
	v_addc_co_u32_e32 v9, vcc, v25, v2, vcc
	global_store_dwordx2 v[8:9], v[12:13], off
	buffer_wbl2
	s_waitcnt vmcnt(0)
	global_atomic_cmpswap_x2 v[4:5], v31, v[10:13], s[2:3] offset:32 glc
	s_waitcnt vmcnt(0)
	v_cmp_ne_u64_e32 vcc, v[4:5], v[12:13]
	s_and_saveexec_b64 s[14:15], vcc
	s_cbranch_execz .LBB7_211
; %bb.209:                              ;   in Loop: Header=BB7_144 Depth=1
	s_mov_b64 s[16:17], 0
.LBB7_210:                              ;   Parent Loop BB7_144 Depth=1
                                        ; =>  This Inner Loop Header: Depth=2
	s_sleep 1
	global_store_dwordx2 v[8:9], v[4:5], off
	v_mov_b32_e32 v2, s10
	v_mov_b32_e32 v3, s11
	buffer_wbl2
	s_waitcnt vmcnt(0)
	global_atomic_cmpswap_x2 v[2:3], v31, v[2:5], s[2:3] offset:32 glc
	s_waitcnt vmcnt(0)
	v_cmp_eq_u64_e32 vcc, v[2:3], v[4:5]
	s_or_b64 s[16:17], vcc, s[16:17]
	v_pk_mov_b32 v[4:5], v[2:3], v[2:3] op_sel:[0,1]
	s_andn2_b64 exec, exec, s[16:17]
	s_cbranch_execnz .LBB7_210
.LBB7_211:                              ;   in Loop: Header=BB7_144 Depth=1
	s_or_b64 exec, exec, s[14:15]
	global_load_dwordx2 v[2:3], v31, s[2:3] offset:16
	s_mov_b64 s[16:17], exec
	v_mbcnt_lo_u32_b32 v4, s16, 0
	v_mbcnt_hi_u32_b32 v4, s17, v4
	v_cmp_eq_u32_e32 vcc, 0, v4
	s_and_saveexec_b64 s[14:15], vcc
	s_cbranch_execz .LBB7_213
; %bb.212:                              ;   in Loop: Header=BB7_144 Depth=1
	s_bcnt1_i32_b64 s16, s[16:17]
	v_mov_b32_e32 v30, s16
	buffer_wbl2
	s_waitcnt vmcnt(0)
	global_atomic_add_x2 v[2:3], v[30:31], off offset:8
.LBB7_213:                              ;   in Loop: Header=BB7_144 Depth=1
	s_or_b64 exec, exec, s[14:15]
	s_waitcnt vmcnt(0)
	global_load_dwordx2 v[4:5], v[2:3], off offset:16
	s_waitcnt vmcnt(0)
	v_cmp_eq_u64_e32 vcc, 0, v[4:5]
	s_cbranch_vccnz .LBB7_215
; %bb.214:                              ;   in Loop: Header=BB7_144 Depth=1
	global_load_dword v30, v[2:3], off offset:24
	s_waitcnt vmcnt(0)
	v_and_b32_e32 v2, 0xffffff, v30
	v_readfirstlane_b32 m0, v2
	buffer_wbl2
	global_store_dwordx2 v[4:5], v[30:31], off
	s_sendmsg sendmsg(MSG_INTERRUPT)
.LBB7_215:                              ;   in Loop: Header=BB7_144 Depth=1
	s_or_b64 exec, exec, s[12:13]
	v_add_co_u32_e32 v2, vcc, v26, v35
	v_addc_co_u32_e32 v3, vcc, 0, v27, vcc
	s_branch .LBB7_219
.LBB7_216:                              ;   in Loop: Header=BB7_219 Depth=2
	s_or_b64 exec, exec, s[12:13]
	v_readfirstlane_b32 s12, v4
	s_cmp_eq_u32 s12, 0
	s_cbranch_scc1 .LBB7_218
; %bb.217:                              ;   in Loop: Header=BB7_219 Depth=2
	s_sleep 1
	s_cbranch_execnz .LBB7_219
	s_branch .LBB7_221
.LBB7_218:                              ;   in Loop: Header=BB7_144 Depth=1
	s_branch .LBB7_221
.LBB7_219:                              ;   Parent Loop BB7_144 Depth=1
                                        ; =>  This Inner Loop Header: Depth=2
	v_mov_b32_e32 v4, 1
	s_and_saveexec_b64 s[12:13], s[0:1]
	s_cbranch_execz .LBB7_216
; %bb.220:                              ;   in Loop: Header=BB7_219 Depth=2
	global_load_dword v4, v[32:33], off offset:20 glc
	s_waitcnt vmcnt(0)
	buffer_invl2
	buffer_wbinvl1_vol
	v_and_b32_e32 v4, 1, v4
	s_branch .LBB7_216
.LBB7_221:                              ;   in Loop: Header=BB7_144 Depth=1
	global_load_dwordx4 v[2:5], v[2:3], off
	s_and_saveexec_b64 s[12:13], s[0:1]
	s_cbranch_execz .LBB7_143
; %bb.222:                              ;   in Loop: Header=BB7_144 Depth=1
	global_load_dwordx2 v[4:5], v31, s[2:3] offset:40
	global_load_dwordx2 v[12:13], v31, s[2:3] offset:24 glc
	global_load_dwordx2 v[14:15], v31, s[2:3]
	v_mov_b32_e32 v9, s11
	s_waitcnt vmcnt(2)
	v_add_co_u32_e32 v11, vcc, 1, v4
	v_addc_co_u32_e32 v16, vcc, 0, v5, vcc
	v_add_co_u32_e32 v8, vcc, s10, v11
	v_addc_co_u32_e32 v9, vcc, v16, v9, vcc
	v_cmp_eq_u64_e32 vcc, 0, v[8:9]
	v_cndmask_b32_e32 v9, v9, v16, vcc
	v_cndmask_b32_e32 v8, v8, v11, vcc
	v_and_b32_e32 v5, v9, v5
	v_and_b32_e32 v4, v8, v4
	v_mul_lo_u32 v5, v5, 24
	v_mul_hi_u32 v11, v4, 24
	v_mul_lo_u32 v4, v4, 24
	v_add_u32_e32 v5, v11, v5
	s_waitcnt vmcnt(0)
	v_add_co_u32_e32 v4, vcc, v14, v4
	v_addc_co_u32_e32 v5, vcc, v15, v5, vcc
	v_mov_b32_e32 v10, v12
	global_store_dwordx2 v[4:5], v[12:13], off
	v_mov_b32_e32 v11, v13
	buffer_wbl2
	s_waitcnt vmcnt(0)
	global_atomic_cmpswap_x2 v[10:11], v31, v[8:11], s[2:3] offset:24 glc
	s_waitcnt vmcnt(0)
	v_cmp_ne_u64_e32 vcc, v[10:11], v[12:13]
	s_and_b64 exec, exec, vcc
	s_cbranch_execz .LBB7_143
; %bb.223:                              ;   in Loop: Header=BB7_144 Depth=1
	s_mov_b64 s[0:1], 0
.LBB7_224:                              ;   Parent Loop BB7_144 Depth=1
                                        ; =>  This Inner Loop Header: Depth=2
	s_sleep 1
	global_store_dwordx2 v[4:5], v[10:11], off
	buffer_wbl2
	s_waitcnt vmcnt(0)
	global_atomic_cmpswap_x2 v[12:13], v31, v[8:11], s[2:3] offset:24 glc
	s_waitcnt vmcnt(0)
	v_cmp_eq_u64_e32 vcc, v[12:13], v[10:11]
	s_or_b64 s[0:1], vcc, s[0:1]
	v_pk_mov_b32 v[10:11], v[12:13], v[12:13] op_sel:[0,1]
	s_andn2_b64 exec, exec, s[0:1]
	s_cbranch_execnz .LBB7_224
	s_branch .LBB7_143
.LBB7_225:
	s_branch .LBB7_253
.LBB7_226:
                                        ; implicit-def: $vgpr2_vgpr3
	s_cbranch_execz .LBB7_253
; %bb.227:
	v_readfirstlane_b32 s0, v36
	v_cmp_eq_u32_e64 s[0:1], s0, v36
	v_pk_mov_b32 v[8:9], 0, 0
	s_and_saveexec_b64 s[4:5], s[0:1]
	s_cbranch_execz .LBB7_233
; %bb.228:
	s_waitcnt vmcnt(0)
	v_mov_b32_e32 v2, 0
	global_load_dwordx2 v[6:7], v2, s[2:3] offset:24 glc
	s_waitcnt vmcnt(0)
	buffer_invl2
	buffer_wbinvl1_vol
	global_load_dwordx2 v[4:5], v2, s[2:3] offset:40
	global_load_dwordx2 v[8:9], v2, s[2:3]
	s_waitcnt vmcnt(1)
	v_and_b32_e32 v3, v4, v6
	v_and_b32_e32 v4, v5, v7
	v_mul_lo_u32 v4, v4, 24
	v_mul_hi_u32 v5, v3, 24
	v_mul_lo_u32 v3, v3, 24
	v_add_u32_e32 v5, v5, v4
	s_waitcnt vmcnt(0)
	v_add_co_u32_e32 v4, vcc, v8, v3
	v_addc_co_u32_e32 v5, vcc, v9, v5, vcc
	global_load_dwordx2 v[4:5], v[4:5], off glc
	s_waitcnt vmcnt(0)
	global_atomic_cmpswap_x2 v[8:9], v2, v[4:7], s[2:3] offset:24 glc
	s_waitcnt vmcnt(0)
	buffer_invl2
	buffer_wbinvl1_vol
	v_cmp_ne_u64_e32 vcc, v[8:9], v[6:7]
	s_and_saveexec_b64 s[6:7], vcc
	s_cbranch_execz .LBB7_232
; %bb.229:
	s_mov_b64 s[8:9], 0
.LBB7_230:                              ; =>This Inner Loop Header: Depth=1
	s_sleep 1
	global_load_dwordx2 v[4:5], v2, s[2:3] offset:40
	global_load_dwordx2 v[10:11], v2, s[2:3]
	v_pk_mov_b32 v[6:7], v[8:9], v[8:9] op_sel:[0,1]
	s_waitcnt vmcnt(1)
	v_and_b32_e32 v4, v4, v6
	v_and_b32_e32 v3, v5, v7
	s_waitcnt vmcnt(0)
	v_mad_u64_u32 v[4:5], s[10:11], v4, 24, v[10:11]
	v_mov_b32_e32 v8, v5
	v_mad_u64_u32 v[8:9], s[10:11], v3, 24, v[8:9]
	v_mov_b32_e32 v5, v8
	global_load_dwordx2 v[4:5], v[4:5], off glc
	s_waitcnt vmcnt(0)
	global_atomic_cmpswap_x2 v[8:9], v2, v[4:7], s[2:3] offset:24 glc
	s_waitcnt vmcnt(0)
	buffer_invl2
	buffer_wbinvl1_vol
	v_cmp_eq_u64_e32 vcc, v[8:9], v[6:7]
	s_or_b64 s[8:9], vcc, s[8:9]
	s_andn2_b64 exec, exec, s[8:9]
	s_cbranch_execnz .LBB7_230
; %bb.231:
	s_or_b64 exec, exec, s[8:9]
.LBB7_232:
	s_or_b64 exec, exec, s[6:7]
.LBB7_233:
	s_or_b64 exec, exec, s[4:5]
	s_waitcnt vmcnt(0)
	v_mov_b32_e32 v2, 0
	global_load_dwordx2 v[10:11], v2, s[2:3] offset:40
	global_load_dwordx4 v[4:7], v2, s[2:3]
	v_readfirstlane_b32 s4, v8
	v_readfirstlane_b32 s5, v9
	s_mov_b64 s[6:7], exec
	s_waitcnt vmcnt(1)
	v_readfirstlane_b32 s8, v10
	v_readfirstlane_b32 s9, v11
	s_and_b64 s[8:9], s[4:5], s[8:9]
	s_mul_i32 s10, s9, 24
	s_mul_hi_u32 s11, s8, 24
	s_mul_i32 s12, s8, 24
	s_add_i32 s10, s11, s10
	v_mov_b32_e32 v3, s10
	s_waitcnt vmcnt(0)
	v_add_co_u32_e32 v8, vcc, s12, v4
	v_addc_co_u32_e32 v9, vcc, v5, v3, vcc
	s_and_saveexec_b64 s[10:11], s[0:1]
	s_cbranch_execz .LBB7_235
; %bb.234:
	v_pk_mov_b32 v[10:11], s[6:7], s[6:7] op_sel:[0,1]
	v_mov_b32_e32 v12, 2
	v_mov_b32_e32 v13, 1
	global_store_dwordx4 v[8:9], v[10:13], off offset:8
.LBB7_235:
	s_or_b64 exec, exec, s[10:11]
	s_lshl_b64 s[6:7], s[8:9], 12
	v_mov_b32_e32 v3, s7
	v_add_co_u32_e32 v10, vcc, s6, v6
	v_addc_co_u32_e32 v11, vcc, v7, v3, vcc
	s_movk_i32 s6, 0xff1f
	s_mov_b32 s8, 0
	v_and_or_b32 v0, v0, s6, 32
	v_mov_b32_e32 v3, v2
	v_readfirstlane_b32 s6, v10
	v_readfirstlane_b32 s7, v11
	s_mov_b32 s9, s8
	v_add_co_u32_e32 v6, vcc, v10, v35
	s_mov_b32 s10, s8
	s_mov_b32 s11, s8
	s_nop 0
	global_store_dwordx4 v35, v[0:3], s[6:7]
	v_addc_co_u32_e32 v7, vcc, 0, v11, vcc
	v_pk_mov_b32 v[0:1], s[8:9], s[8:9] op_sel:[0,1]
	v_pk_mov_b32 v[2:3], s[10:11], s[10:11] op_sel:[0,1]
	global_store_dwordx4 v35, v[0:3], s[6:7] offset:16
	global_store_dwordx4 v35, v[0:3], s[6:7] offset:32
	;; [unrolled: 1-line block ×3, first 2 shown]
	s_and_saveexec_b64 s[6:7], s[0:1]
	s_cbranch_execz .LBB7_243
; %bb.236:
	v_mov_b32_e32 v10, 0
	global_load_dwordx2 v[14:15], v10, s[2:3] offset:32 glc
	global_load_dwordx2 v[0:1], v10, s[2:3] offset:40
	v_mov_b32_e32 v12, s4
	v_mov_b32_e32 v13, s5
	s_waitcnt vmcnt(0)
	v_readfirstlane_b32 s8, v0
	v_readfirstlane_b32 s9, v1
	s_and_b64 s[8:9], s[8:9], s[4:5]
	s_mul_i32 s9, s9, 24
	s_mul_hi_u32 s10, s8, 24
	s_mul_i32 s8, s8, 24
	s_add_i32 s9, s10, s9
	v_mov_b32_e32 v0, s9
	v_add_co_u32_e32 v4, vcc, s8, v4
	v_addc_co_u32_e32 v5, vcc, v5, v0, vcc
	global_store_dwordx2 v[4:5], v[14:15], off
	buffer_wbl2
	s_waitcnt vmcnt(0)
	global_atomic_cmpswap_x2 v[2:3], v10, v[12:15], s[2:3] offset:32 glc
	s_waitcnt vmcnt(0)
	v_cmp_ne_u64_e32 vcc, v[2:3], v[14:15]
	s_and_saveexec_b64 s[8:9], vcc
	s_cbranch_execz .LBB7_239
; %bb.237:
	s_mov_b64 s[10:11], 0
.LBB7_238:                              ; =>This Inner Loop Header: Depth=1
	s_sleep 1
	global_store_dwordx2 v[4:5], v[2:3], off
	v_mov_b32_e32 v0, s4
	v_mov_b32_e32 v1, s5
	buffer_wbl2
	s_waitcnt vmcnt(0)
	global_atomic_cmpswap_x2 v[0:1], v10, v[0:3], s[2:3] offset:32 glc
	s_waitcnt vmcnt(0)
	v_cmp_eq_u64_e32 vcc, v[0:1], v[2:3]
	s_or_b64 s[10:11], vcc, s[10:11]
	v_pk_mov_b32 v[2:3], v[0:1], v[0:1] op_sel:[0,1]
	s_andn2_b64 exec, exec, s[10:11]
	s_cbranch_execnz .LBB7_238
.LBB7_239:
	s_or_b64 exec, exec, s[8:9]
	v_mov_b32_e32 v3, 0
	global_load_dwordx2 v[0:1], v3, s[2:3] offset:16
	s_mov_b64 s[8:9], exec
	v_mbcnt_lo_u32_b32 v2, s8, 0
	v_mbcnt_hi_u32_b32 v2, s9, v2
	v_cmp_eq_u32_e32 vcc, 0, v2
	s_and_saveexec_b64 s[10:11], vcc
	s_cbranch_execz .LBB7_241
; %bb.240:
	s_bcnt1_i32_b64 s8, s[8:9]
	v_mov_b32_e32 v2, s8
	buffer_wbl2
	s_waitcnt vmcnt(0)
	global_atomic_add_x2 v[0:1], v[2:3], off offset:8
.LBB7_241:
	s_or_b64 exec, exec, s[10:11]
	s_waitcnt vmcnt(0)
	global_load_dwordx2 v[2:3], v[0:1], off offset:16
	s_waitcnt vmcnt(0)
	v_cmp_eq_u64_e32 vcc, 0, v[2:3]
	s_cbranch_vccnz .LBB7_243
; %bb.242:
	global_load_dword v0, v[0:1], off offset:24
	v_mov_b32_e32 v1, 0
	buffer_wbl2
	s_waitcnt vmcnt(0)
	global_store_dwordx2 v[2:3], v[0:1], off
	v_and_b32_e32 v0, 0xffffff, v0
	v_readfirstlane_b32 m0, v0
	s_sendmsg sendmsg(MSG_INTERRUPT)
.LBB7_243:
	s_or_b64 exec, exec, s[6:7]
	s_branch .LBB7_247
.LBB7_244:                              ;   in Loop: Header=BB7_247 Depth=1
	s_or_b64 exec, exec, s[6:7]
	v_readfirstlane_b32 s6, v0
	s_cmp_eq_u32 s6, 0
	s_cbranch_scc1 .LBB7_246
; %bb.245:                              ;   in Loop: Header=BB7_247 Depth=1
	s_sleep 1
	s_cbranch_execnz .LBB7_247
	s_branch .LBB7_249
.LBB7_246:
	s_branch .LBB7_249
.LBB7_247:                              ; =>This Inner Loop Header: Depth=1
	v_mov_b32_e32 v0, 1
	s_and_saveexec_b64 s[6:7], s[0:1]
	s_cbranch_execz .LBB7_244
; %bb.248:                              ;   in Loop: Header=BB7_247 Depth=1
	global_load_dword v0, v[8:9], off offset:20 glc
	s_waitcnt vmcnt(0)
	buffer_invl2
	buffer_wbinvl1_vol
	v_and_b32_e32 v0, 1, v0
	s_branch .LBB7_244
.LBB7_249:
	global_load_dwordx2 v[2:3], v[6:7], off
	s_and_saveexec_b64 s[6:7], s[0:1]
	s_cbranch_execz .LBB7_252
; %bb.250:
	v_mov_b32_e32 v8, 0
	global_load_dwordx2 v[0:1], v8, s[2:3] offset:40
	global_load_dwordx2 v[10:11], v8, s[2:3] offset:24 glc
	global_load_dwordx2 v[12:13], v8, s[2:3]
	v_mov_b32_e32 v5, s5
	s_mov_b64 s[0:1], 0
	s_waitcnt vmcnt(2)
	v_add_co_u32_e32 v7, vcc, 1, v0
	v_addc_co_u32_e32 v9, vcc, 0, v1, vcc
	v_add_co_u32_e32 v4, vcc, s4, v7
	v_addc_co_u32_e32 v5, vcc, v9, v5, vcc
	v_cmp_eq_u64_e32 vcc, 0, v[4:5]
	v_cndmask_b32_e32 v5, v5, v9, vcc
	v_cndmask_b32_e32 v4, v4, v7, vcc
	v_and_b32_e32 v1, v5, v1
	v_and_b32_e32 v0, v4, v0
	v_mul_lo_u32 v1, v1, 24
	v_mul_hi_u32 v7, v0, 24
	v_mul_lo_u32 v0, v0, 24
	v_add_u32_e32 v1, v7, v1
	s_waitcnt vmcnt(0)
	v_add_co_u32_e32 v0, vcc, v12, v0
	v_addc_co_u32_e32 v1, vcc, v13, v1, vcc
	v_mov_b32_e32 v6, v10
	global_store_dwordx2 v[0:1], v[10:11], off
	v_mov_b32_e32 v7, v11
	buffer_wbl2
	s_waitcnt vmcnt(0)
	global_atomic_cmpswap_x2 v[6:7], v8, v[4:7], s[2:3] offset:24 glc
	s_waitcnt vmcnt(0)
	v_cmp_ne_u64_e32 vcc, v[6:7], v[10:11]
	s_and_b64 exec, exec, vcc
	s_cbranch_execz .LBB7_252
.LBB7_251:                              ; =>This Inner Loop Header: Depth=1
	s_sleep 1
	global_store_dwordx2 v[0:1], v[6:7], off
	buffer_wbl2
	s_waitcnt vmcnt(0)
	global_atomic_cmpswap_x2 v[10:11], v8, v[4:7], s[2:3] offset:24 glc
	s_waitcnt vmcnt(0)
	v_cmp_eq_u64_e32 vcc, v[10:11], v[6:7]
	s_or_b64 s[0:1], vcc, s[0:1]
	v_pk_mov_b32 v[6:7], v[10:11], v[10:11] op_sel:[0,1]
	s_andn2_b64 exec, exec, s[0:1]
	s_cbranch_execnz .LBB7_251
.LBB7_252:
	s_or_b64 exec, exec, s[6:7]
.LBB7_253:
	v_readfirstlane_b32 s0, v36
	v_cmp_eq_u32_e64 s[0:1], s0, v36
	s_waitcnt vmcnt(0)
	v_pk_mov_b32 v[0:1], 0, 0
	s_and_saveexec_b64 s[4:5], s[0:1]
	s_cbranch_execz .LBB7_259
; %bb.254:
	v_mov_b32_e32 v4, 0
	global_load_dwordx2 v[8:9], v4, s[2:3] offset:24 glc
	s_waitcnt vmcnt(0)
	buffer_invl2
	buffer_wbinvl1_vol
	global_load_dwordx2 v[0:1], v4, s[2:3] offset:40
	global_load_dwordx2 v[6:7], v4, s[2:3]
	s_waitcnt vmcnt(1)
	v_and_b32_e32 v0, v0, v8
	v_and_b32_e32 v1, v1, v9
	v_mul_lo_u32 v1, v1, 24
	v_mul_hi_u32 v5, v0, 24
	v_mul_lo_u32 v0, v0, 24
	v_add_u32_e32 v1, v5, v1
	s_waitcnt vmcnt(0)
	v_add_co_u32_e32 v0, vcc, v6, v0
	v_addc_co_u32_e32 v1, vcc, v7, v1, vcc
	global_load_dwordx2 v[6:7], v[0:1], off glc
	s_waitcnt vmcnt(0)
	global_atomic_cmpswap_x2 v[0:1], v4, v[6:9], s[2:3] offset:24 glc
	s_waitcnt vmcnt(0)
	buffer_invl2
	buffer_wbinvl1_vol
	v_cmp_ne_u64_e32 vcc, v[0:1], v[8:9]
	s_and_saveexec_b64 s[6:7], vcc
	s_cbranch_execz .LBB7_258
; %bb.255:
	s_mov_b64 s[8:9], 0
.LBB7_256:                              ; =>This Inner Loop Header: Depth=1
	s_sleep 1
	global_load_dwordx2 v[6:7], v4, s[2:3] offset:40
	global_load_dwordx2 v[10:11], v4, s[2:3]
	v_pk_mov_b32 v[8:9], v[0:1], v[0:1] op_sel:[0,1]
	s_waitcnt vmcnt(1)
	v_and_b32_e32 v0, v6, v8
	s_waitcnt vmcnt(0)
	v_mad_u64_u32 v[0:1], s[10:11], v0, 24, v[10:11]
	v_and_b32_e32 v5, v7, v9
	v_mov_b32_e32 v6, v1
	v_mad_u64_u32 v[6:7], s[10:11], v5, 24, v[6:7]
	v_mov_b32_e32 v1, v6
	global_load_dwordx2 v[6:7], v[0:1], off glc
	s_waitcnt vmcnt(0)
	global_atomic_cmpswap_x2 v[0:1], v4, v[6:9], s[2:3] offset:24 glc
	s_waitcnt vmcnt(0)
	buffer_invl2
	buffer_wbinvl1_vol
	v_cmp_eq_u64_e32 vcc, v[0:1], v[8:9]
	s_or_b64 s[8:9], vcc, s[8:9]
	s_andn2_b64 exec, exec, s[8:9]
	s_cbranch_execnz .LBB7_256
; %bb.257:
	s_or_b64 exec, exec, s[8:9]
.LBB7_258:
	s_or_b64 exec, exec, s[6:7]
.LBB7_259:
	s_or_b64 exec, exec, s[4:5]
	v_mov_b32_e32 v5, 0
	global_load_dwordx2 v[10:11], v5, s[2:3] offset:40
	global_load_dwordx4 v[6:9], v5, s[2:3]
	v_readfirstlane_b32 s4, v0
	v_readfirstlane_b32 s5, v1
	s_mov_b64 s[6:7], exec
	s_waitcnt vmcnt(1)
	v_readfirstlane_b32 s8, v10
	v_readfirstlane_b32 s9, v11
	s_and_b64 s[8:9], s[4:5], s[8:9]
	s_mul_i32 s10, s9, 24
	s_mul_hi_u32 s11, s8, 24
	s_mul_i32 s12, s8, 24
	s_add_i32 s10, s11, s10
	v_mov_b32_e32 v0, s10
	s_waitcnt vmcnt(0)
	v_add_co_u32_e32 v10, vcc, s12, v6
	v_addc_co_u32_e32 v11, vcc, v7, v0, vcc
	s_and_saveexec_b64 s[10:11], s[0:1]
	s_cbranch_execz .LBB7_261
; %bb.260:
	v_pk_mov_b32 v[12:13], s[6:7], s[6:7] op_sel:[0,1]
	v_mov_b32_e32 v14, 2
	v_mov_b32_e32 v15, 1
	global_store_dwordx4 v[10:11], v[12:15], off offset:8
.LBB7_261:
	s_or_b64 exec, exec, s[10:11]
	s_lshl_b64 s[6:7], s[8:9], 12
	v_mov_b32_e32 v1, s7
	v_add_co_u32_e32 v0, vcc, s6, v8
	v_addc_co_u32_e32 v1, vcc, v9, v1, vcc
	s_movk_i32 s6, 0xff1d
	s_mov_b32 s8, 0
	v_and_or_b32 v2, v2, s6, 34
	v_mov_b32_e32 v4, v34
	v_readfirstlane_b32 s6, v0
	v_readfirstlane_b32 s7, v1
	s_mov_b32 s9, s8
	s_mov_b32 s10, s8
	;; [unrolled: 1-line block ×3, first 2 shown]
	s_nop 1
	global_store_dwordx4 v35, v[2:5], s[6:7]
	v_pk_mov_b32 v[0:1], s[8:9], s[8:9] op_sel:[0,1]
	v_pk_mov_b32 v[2:3], s[10:11], s[10:11] op_sel:[0,1]
	global_store_dwordx4 v35, v[0:3], s[6:7] offset:16
	global_store_dwordx4 v35, v[0:3], s[6:7] offset:32
	;; [unrolled: 1-line block ×3, first 2 shown]
	s_and_saveexec_b64 s[6:7], s[0:1]
	s_cbranch_execz .LBB7_269
; %bb.262:
	v_mov_b32_e32 v8, 0
	global_load_dwordx2 v[14:15], v8, s[2:3] offset:32 glc
	global_load_dwordx2 v[0:1], v8, s[2:3] offset:40
	v_mov_b32_e32 v12, s4
	v_mov_b32_e32 v13, s5
	s_waitcnt vmcnt(0)
	v_readfirstlane_b32 s8, v0
	v_readfirstlane_b32 s9, v1
	s_and_b64 s[8:9], s[8:9], s[4:5]
	s_mul_i32 s9, s9, 24
	s_mul_hi_u32 s10, s8, 24
	s_mul_i32 s8, s8, 24
	s_add_i32 s9, s10, s9
	v_mov_b32_e32 v0, s9
	v_add_co_u32_e32 v4, vcc, s8, v6
	v_addc_co_u32_e32 v5, vcc, v7, v0, vcc
	global_store_dwordx2 v[4:5], v[14:15], off
	buffer_wbl2
	s_waitcnt vmcnt(0)
	global_atomic_cmpswap_x2 v[2:3], v8, v[12:15], s[2:3] offset:32 glc
	s_waitcnt vmcnt(0)
	v_cmp_ne_u64_e32 vcc, v[2:3], v[14:15]
	s_and_saveexec_b64 s[8:9], vcc
	s_cbranch_execz .LBB7_265
; %bb.263:
	s_mov_b64 s[10:11], 0
.LBB7_264:                              ; =>This Inner Loop Header: Depth=1
	s_sleep 1
	global_store_dwordx2 v[4:5], v[2:3], off
	v_mov_b32_e32 v0, s4
	v_mov_b32_e32 v1, s5
	buffer_wbl2
	s_waitcnt vmcnt(0)
	global_atomic_cmpswap_x2 v[0:1], v8, v[0:3], s[2:3] offset:32 glc
	s_waitcnt vmcnt(0)
	v_cmp_eq_u64_e32 vcc, v[0:1], v[2:3]
	s_or_b64 s[10:11], vcc, s[10:11]
	v_pk_mov_b32 v[2:3], v[0:1], v[0:1] op_sel:[0,1]
	s_andn2_b64 exec, exec, s[10:11]
	s_cbranch_execnz .LBB7_264
.LBB7_265:
	s_or_b64 exec, exec, s[8:9]
	v_mov_b32_e32 v3, 0
	global_load_dwordx2 v[0:1], v3, s[2:3] offset:16
	s_mov_b64 s[8:9], exec
	v_mbcnt_lo_u32_b32 v2, s8, 0
	v_mbcnt_hi_u32_b32 v2, s9, v2
	v_cmp_eq_u32_e32 vcc, 0, v2
	s_and_saveexec_b64 s[10:11], vcc
	s_cbranch_execz .LBB7_267
; %bb.266:
	s_bcnt1_i32_b64 s8, s[8:9]
	v_mov_b32_e32 v2, s8
	buffer_wbl2
	s_waitcnt vmcnt(0)
	global_atomic_add_x2 v[0:1], v[2:3], off offset:8
.LBB7_267:
	s_or_b64 exec, exec, s[10:11]
	s_waitcnt vmcnt(0)
	global_load_dwordx2 v[2:3], v[0:1], off offset:16
	s_waitcnt vmcnt(0)
	v_cmp_eq_u64_e32 vcc, 0, v[2:3]
	s_cbranch_vccnz .LBB7_269
; %bb.268:
	global_load_dword v0, v[0:1], off offset:24
	v_mov_b32_e32 v1, 0
	buffer_wbl2
	s_waitcnt vmcnt(0)
	global_store_dwordx2 v[2:3], v[0:1], off
	v_and_b32_e32 v0, 0xffffff, v0
	v_readfirstlane_b32 m0, v0
	s_sendmsg sendmsg(MSG_INTERRUPT)
.LBB7_269:
	s_or_b64 exec, exec, s[6:7]
	s_branch .LBB7_273
.LBB7_270:                              ;   in Loop: Header=BB7_273 Depth=1
	s_or_b64 exec, exec, s[6:7]
	v_readfirstlane_b32 s6, v0
	s_cmp_eq_u32 s6, 0
	s_cbranch_scc1 .LBB7_272
; %bb.271:                              ;   in Loop: Header=BB7_273 Depth=1
	s_sleep 1
	s_cbranch_execnz .LBB7_273
	s_branch .LBB7_275
.LBB7_272:
	s_branch .LBB7_275
.LBB7_273:                              ; =>This Inner Loop Header: Depth=1
	v_mov_b32_e32 v0, 1
	s_and_saveexec_b64 s[6:7], s[0:1]
	s_cbranch_execz .LBB7_270
; %bb.274:                              ;   in Loop: Header=BB7_273 Depth=1
	global_load_dword v0, v[10:11], off offset:20 glc
	s_waitcnt vmcnt(0)
	buffer_invl2
	buffer_wbinvl1_vol
	v_and_b32_e32 v0, 1, v0
	s_branch .LBB7_270
.LBB7_275:
	s_and_saveexec_b64 s[6:7], s[0:1]
	s_cbranch_execz .LBB7_278
; %bb.276:
	v_mov_b32_e32 v6, 0
	global_load_dwordx2 v[4:5], v6, s[2:3] offset:40
	global_load_dwordx2 v[8:9], v6, s[2:3] offset:24 glc
	global_load_dwordx2 v[10:11], v6, s[2:3]
	v_mov_b32_e32 v1, s5
	s_mov_b64 s[0:1], 0
	s_waitcnt vmcnt(2)
	v_add_co_u32_e32 v3, vcc, 1, v4
	v_addc_co_u32_e32 v7, vcc, 0, v5, vcc
	v_add_co_u32_e32 v0, vcc, s4, v3
	v_addc_co_u32_e32 v1, vcc, v7, v1, vcc
	v_cmp_eq_u64_e32 vcc, 0, v[0:1]
	v_cndmask_b32_e32 v1, v1, v7, vcc
	v_cndmask_b32_e32 v0, v0, v3, vcc
	v_and_b32_e32 v3, v1, v5
	v_and_b32_e32 v4, v0, v4
	v_mul_lo_u32 v3, v3, 24
	v_mul_hi_u32 v5, v4, 24
	v_mul_lo_u32 v4, v4, 24
	v_add_u32_e32 v3, v5, v3
	s_waitcnt vmcnt(0)
	v_add_co_u32_e32 v4, vcc, v10, v4
	v_addc_co_u32_e32 v5, vcc, v11, v3, vcc
	v_mov_b32_e32 v2, v8
	global_store_dwordx2 v[4:5], v[8:9], off
	v_mov_b32_e32 v3, v9
	buffer_wbl2
	s_waitcnt vmcnt(0)
	global_atomic_cmpswap_x2 v[2:3], v6, v[0:3], s[2:3] offset:24 glc
	s_waitcnt vmcnt(0)
	v_cmp_ne_u64_e32 vcc, v[2:3], v[8:9]
	s_and_b64 exec, exec, vcc
	s_cbranch_execz .LBB7_278
.LBB7_277:                              ; =>This Inner Loop Header: Depth=1
	s_sleep 1
	global_store_dwordx2 v[4:5], v[2:3], off
	buffer_wbl2
	s_waitcnt vmcnt(0)
	global_atomic_cmpswap_x2 v[8:9], v6, v[0:3], s[2:3] offset:24 glc
	s_waitcnt vmcnt(0)
	v_cmp_eq_u64_e32 vcc, v[8:9], v[2:3]
	s_or_b64 s[0:1], vcc, s[0:1]
	v_pk_mov_b32 v[2:3], v[8:9], v[8:9] op_sel:[0,1]
	s_andn2_b64 exec, exec, s[0:1]
	s_cbranch_execnz .LBB7_277
.LBB7_278:
	s_endpgm
	.section	.rodata,"a",@progbits
	.p2align	6, 0x0
	.amdhsa_kernel _ZN19hipPrintfStressTest17kernel_shared_memEv
		.amdhsa_group_segment_fixed_size 4
		.amdhsa_private_segment_fixed_size 0
		.amdhsa_kernarg_size 256
		.amdhsa_user_sgpr_count 6
		.amdhsa_user_sgpr_private_segment_buffer 1
		.amdhsa_user_sgpr_dispatch_ptr 0
		.amdhsa_user_sgpr_queue_ptr 0
		.amdhsa_user_sgpr_kernarg_segment_ptr 1
		.amdhsa_user_sgpr_dispatch_id 0
		.amdhsa_user_sgpr_flat_scratch_init 0
		.amdhsa_user_sgpr_kernarg_preload_length 0
		.amdhsa_user_sgpr_kernarg_preload_offset 0
		.amdhsa_user_sgpr_private_segment_size 0
		.amdhsa_uses_dynamic_stack 0
		.amdhsa_system_sgpr_private_segment_wavefront_offset 0
		.amdhsa_system_sgpr_workgroup_id_x 1
		.amdhsa_system_sgpr_workgroup_id_y 0
		.amdhsa_system_sgpr_workgroup_id_z 0
		.amdhsa_system_sgpr_workgroup_info 0
		.amdhsa_system_vgpr_workitem_id 0
		.amdhsa_next_free_vgpr 37
		.amdhsa_next_free_sgpr 19
		.amdhsa_accum_offset 40
		.amdhsa_reserve_vcc 1
		.amdhsa_reserve_flat_scratch 0
		.amdhsa_float_round_mode_32 0
		.amdhsa_float_round_mode_16_64 0
		.amdhsa_float_denorm_mode_32 3
		.amdhsa_float_denorm_mode_16_64 3
		.amdhsa_dx10_clamp 1
		.amdhsa_ieee_mode 1
		.amdhsa_fp16_overflow 0
		.amdhsa_tg_split 0
		.amdhsa_exception_fp_ieee_invalid_op 0
		.amdhsa_exception_fp_denorm_src 0
		.amdhsa_exception_fp_ieee_div_zero 0
		.amdhsa_exception_fp_ieee_overflow 0
		.amdhsa_exception_fp_ieee_underflow 0
		.amdhsa_exception_fp_ieee_inexact 0
		.amdhsa_exception_int_div_zero 0
	.end_amdhsa_kernel
	.text
.Lfunc_end7:
	.size	_ZN19hipPrintfStressTest17kernel_shared_memEv, .Lfunc_end7-_ZN19hipPrintfStressTest17kernel_shared_memEv
                                        ; -- End function
	.section	.AMDGPU.csdata,"",@progbits
; Kernel info:
; codeLenInByte = 9784
; NumSgprs: 23
; NumVgprs: 37
; NumAgprs: 0
; TotalNumVgprs: 37
; ScratchSize: 0
; MemoryBound: 0
; FloatMode: 240
; IeeeMode: 1
; LDSByteSize: 4 bytes/workgroup (compile time only)
; SGPRBlocks: 2
; VGPRBlocks: 4
; NumSGPRsForWavesPerEU: 23
; NumVGPRsForWavesPerEU: 37
; AccumOffset: 40
; Occupancy: 8
; WaveLimiterHint : 1
; COMPUTE_PGM_RSRC2:SCRATCH_EN: 0
; COMPUTE_PGM_RSRC2:USER_SGPR: 6
; COMPUTE_PGM_RSRC2:TRAP_HANDLER: 0
; COMPUTE_PGM_RSRC2:TGID_X_EN: 1
; COMPUTE_PGM_RSRC2:TGID_Y_EN: 0
; COMPUTE_PGM_RSRC2:TGID_Z_EN: 0
; COMPUTE_PGM_RSRC2:TIDIG_COMP_CNT: 0
; COMPUTE_PGM_RSRC3_GFX90A:ACCUM_OFFSET: 9
; COMPUTE_PGM_RSRC3_GFX90A:TG_SPLIT: 0
	.text
	.protected	_ZN19hipPrintfStressTest26kernel_synchronized_printfEv ; -- Begin function _ZN19hipPrintfStressTest26kernel_synchronized_printfEv
	.globl	_ZN19hipPrintfStressTest26kernel_synchronized_printfEv
	.p2align	8
	.type	_ZN19hipPrintfStressTest26kernel_synchronized_printfEv,@function
_ZN19hipPrintfStressTest26kernel_synchronized_printfEv: ; @_ZN19hipPrintfStressTest26kernel_synchronized_printfEv
; %bb.0:
	s_load_dwordx2 s[2:3], s[4:5], 0x50
	v_mbcnt_lo_u32_b32 v0, -1, 0
	v_mbcnt_hi_u32_b32 v35, -1, v0
	v_readfirstlane_b32 s0, v35
	v_cmp_eq_u32_e64 s[0:1], s0, v35
	v_pk_mov_b32 v[6:7], 0, 0
	s_and_saveexec_b64 s[4:5], s[0:1]
	s_cbranch_execz .LBB8_6
; %bb.1:
	v_mov_b32_e32 v0, 0
	s_waitcnt lgkmcnt(0)
	global_load_dwordx2 v[4:5], v0, s[2:3] offset:24 glc
	s_waitcnt vmcnt(0)
	buffer_invl2
	buffer_wbinvl1_vol
	global_load_dwordx2 v[2:3], v0, s[2:3] offset:40
	global_load_dwordx2 v[6:7], v0, s[2:3]
	s_waitcnt vmcnt(1)
	v_and_b32_e32 v1, v2, v4
	v_and_b32_e32 v2, v3, v5
	v_mul_lo_u32 v2, v2, 24
	v_mul_hi_u32 v3, v1, 24
	v_mul_lo_u32 v1, v1, 24
	v_add_u32_e32 v3, v3, v2
	s_waitcnt vmcnt(0)
	v_add_co_u32_e32 v2, vcc, v6, v1
	v_addc_co_u32_e32 v3, vcc, v7, v3, vcc
	global_load_dwordx2 v[2:3], v[2:3], off glc
	s_waitcnt vmcnt(0)
	global_atomic_cmpswap_x2 v[6:7], v0, v[2:5], s[2:3] offset:24 glc
	s_waitcnt vmcnt(0)
	buffer_invl2
	buffer_wbinvl1_vol
	v_cmp_ne_u64_e32 vcc, v[6:7], v[4:5]
	s_and_saveexec_b64 s[6:7], vcc
	s_cbranch_execz .LBB8_5
; %bb.2:
	s_mov_b64 s[8:9], 0
.LBB8_3:                                ; =>This Inner Loop Header: Depth=1
	s_sleep 1
	global_load_dwordx2 v[2:3], v0, s[2:3] offset:40
	global_load_dwordx2 v[8:9], v0, s[2:3]
	v_pk_mov_b32 v[4:5], v[6:7], v[6:7] op_sel:[0,1]
	s_waitcnt vmcnt(1)
	v_and_b32_e32 v2, v2, v4
	v_and_b32_e32 v1, v3, v5
	s_waitcnt vmcnt(0)
	v_mad_u64_u32 v[2:3], s[10:11], v2, 24, v[8:9]
	v_mov_b32_e32 v6, v3
	v_mad_u64_u32 v[6:7], s[10:11], v1, 24, v[6:7]
	v_mov_b32_e32 v3, v6
	global_load_dwordx2 v[2:3], v[2:3], off glc
	s_waitcnt vmcnt(0)
	global_atomic_cmpswap_x2 v[6:7], v0, v[2:5], s[2:3] offset:24 glc
	s_waitcnt vmcnt(0)
	buffer_invl2
	buffer_wbinvl1_vol
	v_cmp_eq_u64_e32 vcc, v[6:7], v[4:5]
	s_or_b64 s[8:9], vcc, s[8:9]
	s_andn2_b64 exec, exec, s[8:9]
	s_cbranch_execnz .LBB8_3
; %bb.4:
	s_or_b64 exec, exec, s[8:9]
.LBB8_5:
	s_or_b64 exec, exec, s[6:7]
.LBB8_6:
	s_or_b64 exec, exec, s[4:5]
	v_mov_b32_e32 v5, 0
	s_waitcnt lgkmcnt(0)
	global_load_dwordx2 v[8:9], v5, s[2:3] offset:40
	global_load_dwordx4 v[0:3], v5, s[2:3]
	v_readfirstlane_b32 s4, v6
	v_readfirstlane_b32 s5, v7
	s_mov_b64 s[6:7], exec
	s_waitcnt vmcnt(1)
	v_readfirstlane_b32 s8, v8
	v_readfirstlane_b32 s9, v9
	s_and_b64 s[8:9], s[4:5], s[8:9]
	s_mul_i32 s10, s9, 24
	s_mul_hi_u32 s11, s8, 24
	s_mul_i32 s12, s8, 24
	s_add_i32 s10, s11, s10
	v_mov_b32_e32 v4, s10
	s_waitcnt vmcnt(0)
	v_add_co_u32_e32 v8, vcc, s12, v0
	v_addc_co_u32_e32 v9, vcc, v1, v4, vcc
	s_and_saveexec_b64 s[10:11], s[0:1]
	s_cbranch_execz .LBB8_8
; %bb.7:
	v_pk_mov_b32 v[10:11], s[6:7], s[6:7] op_sel:[0,1]
	v_mov_b32_e32 v12, 2
	v_mov_b32_e32 v13, 1
	global_store_dwordx4 v[8:9], v[10:13], off offset:8
.LBB8_8:
	s_or_b64 exec, exec, s[10:11]
	s_lshl_b64 s[6:7], s[8:9], 12
	v_mov_b32_e32 v4, s7
	v_add_co_u32_e32 v2, vcc, s6, v2
	v_addc_co_u32_e32 v3, vcc, v3, v4, vcc
	s_mov_b32 s8, 0
	v_lshlrev_b32_e32 v34, 6, v35
	v_add_co_u32_e32 v10, vcc, v2, v34
	v_mov_b32_e32 v4, 33
	v_mov_b32_e32 v6, v5
	;; [unrolled: 1-line block ×3, first 2 shown]
	v_readfirstlane_b32 s6, v2
	v_readfirstlane_b32 s7, v3
	s_mov_b32 s9, s8
	v_addc_co_u32_e32 v11, vcc, 0, v3, vcc
	s_mov_b32 s10, s8
	s_mov_b32 s11, s8
	s_nop 0
	global_store_dwordx4 v34, v[4:7], s[6:7]
	v_pk_mov_b32 v[2:3], s[8:9], s[8:9] op_sel:[0,1]
	v_pk_mov_b32 v[4:5], s[10:11], s[10:11] op_sel:[0,1]
	global_store_dwordx4 v34, v[2:5], s[6:7] offset:16
	global_store_dwordx4 v34, v[2:5], s[6:7] offset:32
	;; [unrolled: 1-line block ×3, first 2 shown]
	s_and_saveexec_b64 s[6:7], s[0:1]
	s_cbranch_execz .LBB8_16
; %bb.9:
	v_mov_b32_e32 v6, 0
	global_load_dwordx2 v[14:15], v6, s[2:3] offset:32 glc
	global_load_dwordx2 v[2:3], v6, s[2:3] offset:40
	v_mov_b32_e32 v12, s4
	v_mov_b32_e32 v13, s5
	s_waitcnt vmcnt(0)
	v_and_b32_e32 v2, s4, v2
	v_and_b32_e32 v3, s5, v3
	v_mul_lo_u32 v3, v3, 24
	v_mul_hi_u32 v4, v2, 24
	v_mul_lo_u32 v2, v2, 24
	v_add_u32_e32 v3, v4, v3
	v_add_co_u32_e32 v4, vcc, v0, v2
	v_addc_co_u32_e32 v5, vcc, v1, v3, vcc
	global_store_dwordx2 v[4:5], v[14:15], off
	buffer_wbl2
	s_waitcnt vmcnt(0)
	global_atomic_cmpswap_x2 v[2:3], v6, v[12:15], s[2:3] offset:32 glc
	s_waitcnt vmcnt(0)
	v_cmp_ne_u64_e32 vcc, v[2:3], v[14:15]
	s_and_saveexec_b64 s[8:9], vcc
	s_cbranch_execz .LBB8_12
; %bb.10:
	s_mov_b64 s[10:11], 0
.LBB8_11:                               ; =>This Inner Loop Header: Depth=1
	s_sleep 1
	global_store_dwordx2 v[4:5], v[2:3], off
	v_mov_b32_e32 v0, s4
	v_mov_b32_e32 v1, s5
	buffer_wbl2
	s_waitcnt vmcnt(0)
	global_atomic_cmpswap_x2 v[0:1], v6, v[0:3], s[2:3] offset:32 glc
	s_waitcnt vmcnt(0)
	v_cmp_eq_u64_e32 vcc, v[0:1], v[2:3]
	s_or_b64 s[10:11], vcc, s[10:11]
	v_pk_mov_b32 v[2:3], v[0:1], v[0:1] op_sel:[0,1]
	s_andn2_b64 exec, exec, s[10:11]
	s_cbranch_execnz .LBB8_11
.LBB8_12:
	s_or_b64 exec, exec, s[8:9]
	v_mov_b32_e32 v3, 0
	global_load_dwordx2 v[0:1], v3, s[2:3] offset:16
	s_mov_b64 s[8:9], exec
	v_mbcnt_lo_u32_b32 v2, s8, 0
	v_mbcnt_hi_u32_b32 v2, s9, v2
	v_cmp_eq_u32_e32 vcc, 0, v2
	s_and_saveexec_b64 s[10:11], vcc
	s_cbranch_execz .LBB8_14
; %bb.13:
	s_bcnt1_i32_b64 s8, s[8:9]
	v_mov_b32_e32 v2, s8
	buffer_wbl2
	s_waitcnt vmcnt(0)
	global_atomic_add_x2 v[0:1], v[2:3], off offset:8
.LBB8_14:
	s_or_b64 exec, exec, s[10:11]
	s_waitcnt vmcnt(0)
	global_load_dwordx2 v[2:3], v[0:1], off offset:16
	s_waitcnt vmcnt(0)
	v_cmp_eq_u64_e32 vcc, 0, v[2:3]
	s_cbranch_vccnz .LBB8_16
; %bb.15:
	global_load_dword v0, v[0:1], off offset:24
	v_mov_b32_e32 v1, 0
	buffer_wbl2
	s_waitcnt vmcnt(0)
	global_store_dwordx2 v[2:3], v[0:1], off
	v_and_b32_e32 v0, 0xffffff, v0
	v_readfirstlane_b32 m0, v0
	s_sendmsg sendmsg(MSG_INTERRUPT)
.LBB8_16:
	s_or_b64 exec, exec, s[6:7]
	s_branch .LBB8_20
.LBB8_17:                               ;   in Loop: Header=BB8_20 Depth=1
	s_or_b64 exec, exec, s[6:7]
	v_readfirstlane_b32 s6, v0
	s_cmp_eq_u32 s6, 0
	s_cbranch_scc1 .LBB8_19
; %bb.18:                               ;   in Loop: Header=BB8_20 Depth=1
	s_sleep 1
	s_cbranch_execnz .LBB8_20
	s_branch .LBB8_22
.LBB8_19:
	s_branch .LBB8_22
.LBB8_20:                               ; =>This Inner Loop Header: Depth=1
	v_mov_b32_e32 v0, 1
	s_and_saveexec_b64 s[6:7], s[0:1]
	s_cbranch_execz .LBB8_17
; %bb.21:                               ;   in Loop: Header=BB8_20 Depth=1
	global_load_dword v0, v[8:9], off offset:20 glc
	s_waitcnt vmcnt(0)
	buffer_invl2
	buffer_wbinvl1_vol
	v_and_b32_e32 v0, 1, v0
	s_branch .LBB8_17
.LBB8_22:
	global_load_dwordx2 v[4:5], v[10:11], off
	s_and_saveexec_b64 s[6:7], s[0:1]
	s_cbranch_execz .LBB8_25
; %bb.23:
	v_mov_b32_e32 v8, 0
	global_load_dwordx2 v[6:7], v8, s[2:3] offset:40
	global_load_dwordx2 v[10:11], v8, s[2:3] offset:24 glc
	global_load_dwordx2 v[12:13], v8, s[2:3]
	v_mov_b32_e32 v1, s5
	s_mov_b64 s[0:1], 0
	s_waitcnt vmcnt(2)
	v_add_co_u32_e32 v3, vcc, 1, v6
	v_addc_co_u32_e32 v9, vcc, 0, v7, vcc
	v_add_co_u32_e32 v0, vcc, s4, v3
	v_addc_co_u32_e32 v1, vcc, v9, v1, vcc
	v_cmp_eq_u64_e32 vcc, 0, v[0:1]
	v_cndmask_b32_e32 v1, v1, v9, vcc
	v_cndmask_b32_e32 v0, v0, v3, vcc
	v_and_b32_e32 v3, v1, v7
	v_and_b32_e32 v6, v0, v6
	v_mul_lo_u32 v3, v3, 24
	v_mul_hi_u32 v7, v6, 24
	v_mul_lo_u32 v6, v6, 24
	v_add_u32_e32 v3, v7, v3
	s_waitcnt vmcnt(0)
	v_add_co_u32_e32 v6, vcc, v12, v6
	v_addc_co_u32_e32 v7, vcc, v13, v3, vcc
	v_mov_b32_e32 v2, v10
	global_store_dwordx2 v[6:7], v[10:11], off
	v_mov_b32_e32 v3, v11
	buffer_wbl2
	s_waitcnt vmcnt(0)
	global_atomic_cmpswap_x2 v[2:3], v8, v[0:3], s[2:3] offset:24 glc
	s_waitcnt vmcnt(0)
	v_cmp_ne_u64_e32 vcc, v[2:3], v[10:11]
	s_and_b64 exec, exec, vcc
	s_cbranch_execz .LBB8_25
.LBB8_24:                               ; =>This Inner Loop Header: Depth=1
	s_sleep 1
	global_store_dwordx2 v[6:7], v[2:3], off
	buffer_wbl2
	s_waitcnt vmcnt(0)
	global_atomic_cmpswap_x2 v[10:11], v8, v[0:3], s[2:3] offset:24 glc
	s_waitcnt vmcnt(0)
	v_cmp_eq_u64_e32 vcc, v[10:11], v[2:3]
	s_or_b64 s[0:1], vcc, s[0:1]
	v_pk_mov_b32 v[2:3], v[10:11], v[10:11] op_sel:[0,1]
	s_andn2_b64 exec, exec, s[0:1]
	s_cbranch_execnz .LBB8_24
.LBB8_25:
	s_or_b64 exec, exec, s[6:7]
	s_getpc_b64 s[6:7]
	s_add_u32 s6, s6, .str.7@rel32@lo+4
	s_addc_u32 s7, s7, .str.7@rel32@hi+12
	s_cmp_lg_u64 s[6:7], 0
	s_cselect_b64 s[4:5], -1, 0
	s_and_b64 vcc, exec, s[4:5]
	s_cbranch_vccz .LBB8_110
; %bb.26:
	s_waitcnt vmcnt(0)
	v_and_b32_e32 v26, 2, v4
	v_mov_b32_e32 v29, 0
	v_and_b32_e32 v0, -3, v4
	v_mov_b32_e32 v1, v5
	s_mov_b64 s[8:9], 6
	v_mov_b32_e32 v8, 2
	v_mov_b32_e32 v9, 1
	s_branch .LBB8_28
.LBB8_27:                               ;   in Loop: Header=BB8_28 Depth=1
	s_or_b64 exec, exec, s[14:15]
	s_sub_u32 s8, s8, s10
	s_subb_u32 s9, s9, s11
	s_add_u32 s6, s6, s10
	s_addc_u32 s7, s7, s11
	s_cmp_lg_u64 s[8:9], 0
	s_cbranch_scc0 .LBB8_109
.LBB8_28:                               ; =>This Loop Header: Depth=1
                                        ;     Child Loop BB8_31 Depth 2
                                        ;     Child Loop BB8_38 Depth 2
	;; [unrolled: 1-line block ×11, first 2 shown]
	v_cmp_lt_u64_e64 s[0:1], s[8:9], 56
	s_and_b64 s[0:1], s[0:1], exec
	v_cmp_gt_u64_e64 s[0:1], s[8:9], 7
	s_cselect_b32 s11, s9, 0
	s_cselect_b32 s10, s8, 56
	s_and_b64 vcc, exec, s[0:1]
	s_cbranch_vccnz .LBB8_33
; %bb.29:                               ;   in Loop: Header=BB8_28 Depth=1
	s_mov_b64 s[0:1], 0
	s_cmp_eq_u64 s[8:9], 0
	s_waitcnt vmcnt(0)
	v_pk_mov_b32 v[2:3], 0, 0
	s_cbranch_scc1 .LBB8_32
; %bb.30:                               ;   in Loop: Header=BB8_28 Depth=1
	s_lshl_b64 s[12:13], s[10:11], 3
	s_mov_b64 s[14:15], 0
	v_pk_mov_b32 v[2:3], 0, 0
	s_mov_b64 s[16:17], s[6:7]
.LBB8_31:                               ;   Parent Loop BB8_28 Depth=1
                                        ; =>  This Inner Loop Header: Depth=2
	global_load_ubyte v6, v29, s[16:17]
	s_waitcnt vmcnt(0)
	v_and_b32_e32 v28, 0xffff, v6
	v_lshlrev_b64 v[6:7], s14, v[28:29]
	s_add_u32 s14, s14, 8
	s_addc_u32 s15, s15, 0
	s_add_u32 s16, s16, 1
	s_addc_u32 s17, s17, 0
	v_or_b32_e32 v2, v6, v2
	s_cmp_lg_u32 s12, s14
	v_or_b32_e32 v3, v7, v3
	s_cbranch_scc1 .LBB8_31
.LBB8_32:                               ;   in Loop: Header=BB8_28 Depth=1
	s_mov_b32 s16, 0
	s_andn2_b64 vcc, exec, s[0:1]
	s_mov_b64 s[0:1], s[6:7]
	s_cbranch_vccz .LBB8_34
	s_branch .LBB8_35
.LBB8_33:                               ;   in Loop: Header=BB8_28 Depth=1
                                        ; implicit-def: $vgpr2_vgpr3
                                        ; implicit-def: $sgpr16
	s_mov_b64 s[0:1], s[6:7]
.LBB8_34:                               ;   in Loop: Header=BB8_28 Depth=1
	global_load_dwordx2 v[2:3], v29, s[6:7]
	s_add_i32 s16, s10, -8
	s_add_u32 s0, s6, 8
	s_addc_u32 s1, s7, 0
.LBB8_35:                               ;   in Loop: Header=BB8_28 Depth=1
	s_cmp_gt_u32 s16, 7
	s_cbranch_scc1 .LBB8_39
; %bb.36:                               ;   in Loop: Header=BB8_28 Depth=1
	s_cmp_eq_u32 s16, 0
	s_cbranch_scc1 .LBB8_40
; %bb.37:                               ;   in Loop: Header=BB8_28 Depth=1
	s_mov_b64 s[12:13], 0
	v_pk_mov_b32 v[10:11], 0, 0
	s_mov_b64 s[14:15], 0
.LBB8_38:                               ;   Parent Loop BB8_28 Depth=1
                                        ; =>  This Inner Loop Header: Depth=2
	s_add_u32 s18, s0, s14
	s_addc_u32 s19, s1, s15
	global_load_ubyte v6, v29, s[18:19]
	s_add_u32 s14, s14, 1
	s_addc_u32 s15, s15, 0
	s_waitcnt vmcnt(0)
	v_and_b32_e32 v28, 0xffff, v6
	v_lshlrev_b64 v[6:7], s12, v[28:29]
	s_add_u32 s12, s12, 8
	s_addc_u32 s13, s13, 0
	v_or_b32_e32 v10, v6, v10
	s_cmp_lg_u32 s16, s14
	v_or_b32_e32 v11, v7, v11
	s_cbranch_scc1 .LBB8_38
	s_branch .LBB8_41
.LBB8_39:                               ;   in Loop: Header=BB8_28 Depth=1
                                        ; implicit-def: $vgpr10_vgpr11
                                        ; implicit-def: $sgpr17
	s_branch .LBB8_42
.LBB8_40:                               ;   in Loop: Header=BB8_28 Depth=1
	v_pk_mov_b32 v[10:11], 0, 0
.LBB8_41:                               ;   in Loop: Header=BB8_28 Depth=1
	s_mov_b32 s17, 0
	s_cbranch_execnz .LBB8_43
.LBB8_42:                               ;   in Loop: Header=BB8_28 Depth=1
	global_load_dwordx2 v[10:11], v29, s[0:1]
	s_add_i32 s17, s16, -8
	s_add_u32 s0, s0, 8
	s_addc_u32 s1, s1, 0
.LBB8_43:                               ;   in Loop: Header=BB8_28 Depth=1
	s_cmp_gt_u32 s17, 7
	s_cbranch_scc1 .LBB8_47
; %bb.44:                               ;   in Loop: Header=BB8_28 Depth=1
	s_cmp_eq_u32 s17, 0
	s_cbranch_scc1 .LBB8_48
; %bb.45:                               ;   in Loop: Header=BB8_28 Depth=1
	s_mov_b64 s[12:13], 0
	v_pk_mov_b32 v[12:13], 0, 0
	s_mov_b64 s[14:15], 0
.LBB8_46:                               ;   Parent Loop BB8_28 Depth=1
                                        ; =>  This Inner Loop Header: Depth=2
	s_add_u32 s18, s0, s14
	s_addc_u32 s19, s1, s15
	global_load_ubyte v6, v29, s[18:19]
	s_add_u32 s14, s14, 1
	s_addc_u32 s15, s15, 0
	s_waitcnt vmcnt(0)
	v_and_b32_e32 v28, 0xffff, v6
	v_lshlrev_b64 v[6:7], s12, v[28:29]
	s_add_u32 s12, s12, 8
	s_addc_u32 s13, s13, 0
	v_or_b32_e32 v12, v6, v12
	s_cmp_lg_u32 s17, s14
	v_or_b32_e32 v13, v7, v13
	s_cbranch_scc1 .LBB8_46
	s_branch .LBB8_49
.LBB8_47:                               ;   in Loop: Header=BB8_28 Depth=1
                                        ; implicit-def: $sgpr16
	s_branch .LBB8_50
.LBB8_48:                               ;   in Loop: Header=BB8_28 Depth=1
	v_pk_mov_b32 v[12:13], 0, 0
.LBB8_49:                               ;   in Loop: Header=BB8_28 Depth=1
	s_mov_b32 s16, 0
	s_cbranch_execnz .LBB8_51
.LBB8_50:                               ;   in Loop: Header=BB8_28 Depth=1
	global_load_dwordx2 v[12:13], v29, s[0:1]
	s_add_i32 s16, s17, -8
	s_add_u32 s0, s0, 8
	s_addc_u32 s1, s1, 0
.LBB8_51:                               ;   in Loop: Header=BB8_28 Depth=1
	s_cmp_gt_u32 s16, 7
	s_cbranch_scc1 .LBB8_55
; %bb.52:                               ;   in Loop: Header=BB8_28 Depth=1
	s_cmp_eq_u32 s16, 0
	s_cbranch_scc1 .LBB8_56
; %bb.53:                               ;   in Loop: Header=BB8_28 Depth=1
	s_mov_b64 s[12:13], 0
	v_pk_mov_b32 v[14:15], 0, 0
	s_mov_b64 s[14:15], 0
.LBB8_54:                               ;   Parent Loop BB8_28 Depth=1
                                        ; =>  This Inner Loop Header: Depth=2
	s_add_u32 s18, s0, s14
	s_addc_u32 s19, s1, s15
	global_load_ubyte v6, v29, s[18:19]
	s_add_u32 s14, s14, 1
	s_addc_u32 s15, s15, 0
	s_waitcnt vmcnt(0)
	v_and_b32_e32 v28, 0xffff, v6
	v_lshlrev_b64 v[6:7], s12, v[28:29]
	s_add_u32 s12, s12, 8
	s_addc_u32 s13, s13, 0
	v_or_b32_e32 v14, v6, v14
	s_cmp_lg_u32 s16, s14
	v_or_b32_e32 v15, v7, v15
	s_cbranch_scc1 .LBB8_54
	s_branch .LBB8_57
.LBB8_55:                               ;   in Loop: Header=BB8_28 Depth=1
                                        ; implicit-def: $vgpr14_vgpr15
                                        ; implicit-def: $sgpr17
	s_branch .LBB8_58
.LBB8_56:                               ;   in Loop: Header=BB8_28 Depth=1
	v_pk_mov_b32 v[14:15], 0, 0
.LBB8_57:                               ;   in Loop: Header=BB8_28 Depth=1
	s_mov_b32 s17, 0
	s_cbranch_execnz .LBB8_59
.LBB8_58:                               ;   in Loop: Header=BB8_28 Depth=1
	global_load_dwordx2 v[14:15], v29, s[0:1]
	s_add_i32 s17, s16, -8
	s_add_u32 s0, s0, 8
	s_addc_u32 s1, s1, 0
.LBB8_59:                               ;   in Loop: Header=BB8_28 Depth=1
	s_cmp_gt_u32 s17, 7
	s_cbranch_scc1 .LBB8_63
; %bb.60:                               ;   in Loop: Header=BB8_28 Depth=1
	s_cmp_eq_u32 s17, 0
	s_cbranch_scc1 .LBB8_64
; %bb.61:                               ;   in Loop: Header=BB8_28 Depth=1
	s_mov_b64 s[12:13], 0
	v_pk_mov_b32 v[16:17], 0, 0
	s_mov_b64 s[14:15], 0
.LBB8_62:                               ;   Parent Loop BB8_28 Depth=1
                                        ; =>  This Inner Loop Header: Depth=2
	s_add_u32 s18, s0, s14
	s_addc_u32 s19, s1, s15
	global_load_ubyte v6, v29, s[18:19]
	s_add_u32 s14, s14, 1
	s_addc_u32 s15, s15, 0
	s_waitcnt vmcnt(0)
	v_and_b32_e32 v28, 0xffff, v6
	v_lshlrev_b64 v[6:7], s12, v[28:29]
	s_add_u32 s12, s12, 8
	s_addc_u32 s13, s13, 0
	v_or_b32_e32 v16, v6, v16
	s_cmp_lg_u32 s17, s14
	v_or_b32_e32 v17, v7, v17
	s_cbranch_scc1 .LBB8_62
	s_branch .LBB8_65
.LBB8_63:                               ;   in Loop: Header=BB8_28 Depth=1
                                        ; implicit-def: $sgpr16
	s_branch .LBB8_66
.LBB8_64:                               ;   in Loop: Header=BB8_28 Depth=1
	v_pk_mov_b32 v[16:17], 0, 0
.LBB8_65:                               ;   in Loop: Header=BB8_28 Depth=1
	s_mov_b32 s16, 0
	s_cbranch_execnz .LBB8_67
.LBB8_66:                               ;   in Loop: Header=BB8_28 Depth=1
	global_load_dwordx2 v[16:17], v29, s[0:1]
	s_add_i32 s16, s17, -8
	s_add_u32 s0, s0, 8
	s_addc_u32 s1, s1, 0
.LBB8_67:                               ;   in Loop: Header=BB8_28 Depth=1
	s_cmp_gt_u32 s16, 7
	s_cbranch_scc1 .LBB8_71
; %bb.68:                               ;   in Loop: Header=BB8_28 Depth=1
	s_cmp_eq_u32 s16, 0
	s_cbranch_scc1 .LBB8_72
; %bb.69:                               ;   in Loop: Header=BB8_28 Depth=1
	s_mov_b64 s[12:13], 0
	v_pk_mov_b32 v[18:19], 0, 0
	s_mov_b64 s[14:15], 0
.LBB8_70:                               ;   Parent Loop BB8_28 Depth=1
                                        ; =>  This Inner Loop Header: Depth=2
	s_add_u32 s18, s0, s14
	s_addc_u32 s19, s1, s15
	global_load_ubyte v6, v29, s[18:19]
	s_add_u32 s14, s14, 1
	s_addc_u32 s15, s15, 0
	s_waitcnt vmcnt(0)
	v_and_b32_e32 v28, 0xffff, v6
	v_lshlrev_b64 v[6:7], s12, v[28:29]
	s_add_u32 s12, s12, 8
	s_addc_u32 s13, s13, 0
	v_or_b32_e32 v18, v6, v18
	s_cmp_lg_u32 s16, s14
	v_or_b32_e32 v19, v7, v19
	s_cbranch_scc1 .LBB8_70
	s_branch .LBB8_73
.LBB8_71:                               ;   in Loop: Header=BB8_28 Depth=1
                                        ; implicit-def: $vgpr18_vgpr19
                                        ; implicit-def: $sgpr17
	s_branch .LBB8_74
.LBB8_72:                               ;   in Loop: Header=BB8_28 Depth=1
	v_pk_mov_b32 v[18:19], 0, 0
.LBB8_73:                               ;   in Loop: Header=BB8_28 Depth=1
	s_mov_b32 s17, 0
	s_cbranch_execnz .LBB8_75
.LBB8_74:                               ;   in Loop: Header=BB8_28 Depth=1
	global_load_dwordx2 v[18:19], v29, s[0:1]
	s_add_i32 s17, s16, -8
	s_add_u32 s0, s0, 8
	s_addc_u32 s1, s1, 0
.LBB8_75:                               ;   in Loop: Header=BB8_28 Depth=1
	s_cmp_gt_u32 s17, 7
	s_cbranch_scc1 .LBB8_79
; %bb.76:                               ;   in Loop: Header=BB8_28 Depth=1
	s_cmp_eq_u32 s17, 0
	s_cbranch_scc1 .LBB8_80
; %bb.77:                               ;   in Loop: Header=BB8_28 Depth=1
	s_mov_b64 s[12:13], 0
	v_pk_mov_b32 v[20:21], 0, 0
	s_mov_b64 s[14:15], s[0:1]
.LBB8_78:                               ;   Parent Loop BB8_28 Depth=1
                                        ; =>  This Inner Loop Header: Depth=2
	global_load_ubyte v6, v29, s[14:15]
	s_add_i32 s17, s17, -1
	s_waitcnt vmcnt(0)
	v_and_b32_e32 v28, 0xffff, v6
	v_lshlrev_b64 v[6:7], s12, v[28:29]
	s_add_u32 s12, s12, 8
	s_addc_u32 s13, s13, 0
	s_add_u32 s14, s14, 1
	s_addc_u32 s15, s15, 0
	v_or_b32_e32 v20, v6, v20
	s_cmp_lg_u32 s17, 0
	v_or_b32_e32 v21, v7, v21
	s_cbranch_scc1 .LBB8_78
	s_branch .LBB8_81
.LBB8_79:                               ;   in Loop: Header=BB8_28 Depth=1
	s_branch .LBB8_82
.LBB8_80:                               ;   in Loop: Header=BB8_28 Depth=1
	v_pk_mov_b32 v[20:21], 0, 0
.LBB8_81:                               ;   in Loop: Header=BB8_28 Depth=1
	s_cbranch_execnz .LBB8_83
.LBB8_82:                               ;   in Loop: Header=BB8_28 Depth=1
	global_load_dwordx2 v[20:21], v29, s[0:1]
.LBB8_83:                               ;   in Loop: Header=BB8_28 Depth=1
	v_readfirstlane_b32 s0, v35
	v_cmp_eq_u32_e64 s[0:1], s0, v35
	v_pk_mov_b32 v[6:7], 0, 0
	s_and_saveexec_b64 s[12:13], s[0:1]
	s_cbranch_execz .LBB8_89
; %bb.84:                               ;   in Loop: Header=BB8_28 Depth=1
	global_load_dwordx2 v[24:25], v29, s[2:3] offset:24 glc
	s_waitcnt vmcnt(0)
	buffer_invl2
	buffer_wbinvl1_vol
	global_load_dwordx2 v[6:7], v29, s[2:3] offset:40
	global_load_dwordx2 v[22:23], v29, s[2:3]
	s_waitcnt vmcnt(1)
	v_and_b32_e32 v6, v6, v24
	v_and_b32_e32 v7, v7, v25
	v_mul_lo_u32 v7, v7, 24
	v_mul_hi_u32 v27, v6, 24
	v_mul_lo_u32 v6, v6, 24
	v_add_u32_e32 v7, v27, v7
	s_waitcnt vmcnt(0)
	v_add_co_u32_e32 v6, vcc, v22, v6
	v_addc_co_u32_e32 v7, vcc, v23, v7, vcc
	global_load_dwordx2 v[22:23], v[6:7], off glc
	s_waitcnt vmcnt(0)
	global_atomic_cmpswap_x2 v[6:7], v29, v[22:25], s[2:3] offset:24 glc
	s_waitcnt vmcnt(0)
	buffer_invl2
	buffer_wbinvl1_vol
	v_cmp_ne_u64_e32 vcc, v[6:7], v[24:25]
	s_and_saveexec_b64 s[14:15], vcc
	s_cbranch_execz .LBB8_88
; %bb.85:                               ;   in Loop: Header=BB8_28 Depth=1
	s_mov_b64 s[16:17], 0
.LBB8_86:                               ;   Parent Loop BB8_28 Depth=1
                                        ; =>  This Inner Loop Header: Depth=2
	s_sleep 1
	global_load_dwordx2 v[22:23], v29, s[2:3] offset:40
	global_load_dwordx2 v[30:31], v29, s[2:3]
	v_pk_mov_b32 v[24:25], v[6:7], v[6:7] op_sel:[0,1]
	s_waitcnt vmcnt(1)
	v_and_b32_e32 v6, v22, v24
	s_waitcnt vmcnt(0)
	v_mad_u64_u32 v[6:7], s[18:19], v6, 24, v[30:31]
	v_and_b32_e32 v23, v23, v25
	v_mov_b32_e32 v22, v7
	v_mad_u64_u32 v[22:23], s[18:19], v23, 24, v[22:23]
	v_mov_b32_e32 v7, v22
	global_load_dwordx2 v[22:23], v[6:7], off glc
	s_waitcnt vmcnt(0)
	global_atomic_cmpswap_x2 v[6:7], v29, v[22:25], s[2:3] offset:24 glc
	s_waitcnt vmcnt(0)
	buffer_invl2
	buffer_wbinvl1_vol
	v_cmp_eq_u64_e32 vcc, v[6:7], v[24:25]
	s_or_b64 s[16:17], vcc, s[16:17]
	s_andn2_b64 exec, exec, s[16:17]
	s_cbranch_execnz .LBB8_86
; %bb.87:                               ;   in Loop: Header=BB8_28 Depth=1
	s_or_b64 exec, exec, s[16:17]
.LBB8_88:                               ;   in Loop: Header=BB8_28 Depth=1
	s_or_b64 exec, exec, s[14:15]
.LBB8_89:                               ;   in Loop: Header=BB8_28 Depth=1
	s_or_b64 exec, exec, s[12:13]
	global_load_dwordx2 v[30:31], v29, s[2:3] offset:40
	global_load_dwordx4 v[22:25], v29, s[2:3]
	v_readfirstlane_b32 s12, v6
	v_readfirstlane_b32 s13, v7
	s_mov_b64 s[14:15], exec
	s_waitcnt vmcnt(1)
	v_readfirstlane_b32 s16, v30
	v_readfirstlane_b32 s17, v31
	s_and_b64 s[16:17], s[12:13], s[16:17]
	s_mul_i32 s18, s17, 24
	s_mul_hi_u32 s19, s16, 24
	s_mul_i32 s20, s16, 24
	s_add_i32 s18, s19, s18
	v_mov_b32_e32 v6, s18
	s_waitcnt vmcnt(0)
	v_add_co_u32_e32 v30, vcc, s20, v22
	v_addc_co_u32_e32 v31, vcc, v23, v6, vcc
	s_and_saveexec_b64 s[18:19], s[0:1]
	s_cbranch_execz .LBB8_91
; %bb.90:                               ;   in Loop: Header=BB8_28 Depth=1
	v_pk_mov_b32 v[6:7], s[14:15], s[14:15] op_sel:[0,1]
	global_store_dwordx4 v[30:31], v[6:9], off offset:8
.LBB8_91:                               ;   in Loop: Header=BB8_28 Depth=1
	s_or_b64 exec, exec, s[18:19]
	s_lshl_b64 s[14:15], s[16:17], 12
	v_mov_b32_e32 v7, s15
	v_add_co_u32_e32 v6, vcc, s14, v24
	v_addc_co_u32_e32 v7, vcc, v25, v7, vcc
	v_or_b32_e32 v25, v0, v26
	v_cmp_gt_u64_e64 vcc, s[8:9], 56
	s_lshl_b32 s14, s10, 2
	v_cndmask_b32_e32 v0, v25, v0, vcc
	s_add_i32 s14, s14, 28
	v_or_b32_e32 v24, 0, v1
	s_and_b32 s14, s14, 0x1e0
	v_and_b32_e32 v0, 0xffffff1f, v0
	v_cndmask_b32_e32 v1, v24, v1, vcc
	v_or_b32_e32 v0, s14, v0
	v_readfirstlane_b32 s14, v6
	v_readfirstlane_b32 s15, v7
	s_nop 4
	global_store_dwordx4 v34, v[0:3], s[14:15]
	global_store_dwordx4 v34, v[10:13], s[14:15] offset:16
	global_store_dwordx4 v34, v[14:17], s[14:15] offset:32
	;; [unrolled: 1-line block ×3, first 2 shown]
	s_and_saveexec_b64 s[14:15], s[0:1]
	s_cbranch_execz .LBB8_99
; %bb.92:                               ;   in Loop: Header=BB8_28 Depth=1
	global_load_dwordx2 v[14:15], v29, s[2:3] offset:32 glc
	global_load_dwordx2 v[0:1], v29, s[2:3] offset:40
	v_mov_b32_e32 v12, s12
	v_mov_b32_e32 v13, s13
	s_waitcnt vmcnt(0)
	v_readfirstlane_b32 s16, v0
	v_readfirstlane_b32 s17, v1
	s_and_b64 s[16:17], s[16:17], s[12:13]
	s_mul_i32 s17, s17, 24
	s_mul_hi_u32 s18, s16, 24
	s_mul_i32 s16, s16, 24
	s_add_i32 s17, s18, s17
	v_mov_b32_e32 v0, s17
	v_add_co_u32_e32 v10, vcc, s16, v22
	v_addc_co_u32_e32 v11, vcc, v23, v0, vcc
	global_store_dwordx2 v[10:11], v[14:15], off
	buffer_wbl2
	s_waitcnt vmcnt(0)
	global_atomic_cmpswap_x2 v[2:3], v29, v[12:15], s[2:3] offset:32 glc
	s_waitcnt vmcnt(0)
	v_cmp_ne_u64_e32 vcc, v[2:3], v[14:15]
	s_and_saveexec_b64 s[16:17], vcc
	s_cbranch_execz .LBB8_95
; %bb.93:                               ;   in Loop: Header=BB8_28 Depth=1
	s_mov_b64 s[18:19], 0
.LBB8_94:                               ;   Parent Loop BB8_28 Depth=1
                                        ; =>  This Inner Loop Header: Depth=2
	s_sleep 1
	global_store_dwordx2 v[10:11], v[2:3], off
	v_mov_b32_e32 v0, s12
	v_mov_b32_e32 v1, s13
	buffer_wbl2
	s_waitcnt vmcnt(0)
	global_atomic_cmpswap_x2 v[0:1], v29, v[0:3], s[2:3] offset:32 glc
	s_waitcnt vmcnt(0)
	v_cmp_eq_u64_e32 vcc, v[0:1], v[2:3]
	s_or_b64 s[18:19], vcc, s[18:19]
	v_pk_mov_b32 v[2:3], v[0:1], v[0:1] op_sel:[0,1]
	s_andn2_b64 exec, exec, s[18:19]
	s_cbranch_execnz .LBB8_94
.LBB8_95:                               ;   in Loop: Header=BB8_28 Depth=1
	s_or_b64 exec, exec, s[16:17]
	global_load_dwordx2 v[0:1], v29, s[2:3] offset:16
	s_mov_b64 s[18:19], exec
	v_mbcnt_lo_u32_b32 v2, s18, 0
	v_mbcnt_hi_u32_b32 v2, s19, v2
	v_cmp_eq_u32_e32 vcc, 0, v2
	s_and_saveexec_b64 s[16:17], vcc
	s_cbranch_execz .LBB8_97
; %bb.96:                               ;   in Loop: Header=BB8_28 Depth=1
	s_bcnt1_i32_b64 s18, s[18:19]
	v_mov_b32_e32 v28, s18
	buffer_wbl2
	s_waitcnt vmcnt(0)
	global_atomic_add_x2 v[0:1], v[28:29], off offset:8
.LBB8_97:                               ;   in Loop: Header=BB8_28 Depth=1
	s_or_b64 exec, exec, s[16:17]
	s_waitcnt vmcnt(0)
	global_load_dwordx2 v[2:3], v[0:1], off offset:16
	s_waitcnt vmcnt(0)
	v_cmp_eq_u64_e32 vcc, 0, v[2:3]
	s_cbranch_vccnz .LBB8_99
; %bb.98:                               ;   in Loop: Header=BB8_28 Depth=1
	global_load_dword v28, v[0:1], off offset:24
	s_waitcnt vmcnt(0)
	v_and_b32_e32 v0, 0xffffff, v28
	v_readfirstlane_b32 m0, v0
	buffer_wbl2
	global_store_dwordx2 v[2:3], v[28:29], off
	s_sendmsg sendmsg(MSG_INTERRUPT)
.LBB8_99:                               ;   in Loop: Header=BB8_28 Depth=1
	s_or_b64 exec, exec, s[14:15]
	v_add_co_u32_e32 v0, vcc, v6, v34
	v_addc_co_u32_e32 v1, vcc, 0, v7, vcc
	s_branch .LBB8_103
.LBB8_100:                              ;   in Loop: Header=BB8_103 Depth=2
	s_or_b64 exec, exec, s[14:15]
	v_readfirstlane_b32 s14, v2
	s_cmp_eq_u32 s14, 0
	s_cbranch_scc1 .LBB8_102
; %bb.101:                              ;   in Loop: Header=BB8_103 Depth=2
	s_sleep 1
	s_cbranch_execnz .LBB8_103
	s_branch .LBB8_105
.LBB8_102:                              ;   in Loop: Header=BB8_28 Depth=1
	s_branch .LBB8_105
.LBB8_103:                              ;   Parent Loop BB8_28 Depth=1
                                        ; =>  This Inner Loop Header: Depth=2
	v_mov_b32_e32 v2, 1
	s_and_saveexec_b64 s[14:15], s[0:1]
	s_cbranch_execz .LBB8_100
; %bb.104:                              ;   in Loop: Header=BB8_103 Depth=2
	global_load_dword v2, v[30:31], off offset:20 glc
	s_waitcnt vmcnt(0)
	buffer_invl2
	buffer_wbinvl1_vol
	v_and_b32_e32 v2, 1, v2
	s_branch .LBB8_100
.LBB8_105:                              ;   in Loop: Header=BB8_28 Depth=1
	global_load_dwordx4 v[0:3], v[0:1], off
	s_and_saveexec_b64 s[14:15], s[0:1]
	s_cbranch_execz .LBB8_27
; %bb.106:                              ;   in Loop: Header=BB8_28 Depth=1
	global_load_dwordx2 v[2:3], v29, s[2:3] offset:40
	global_load_dwordx2 v[6:7], v29, s[2:3] offset:24 glc
	global_load_dwordx2 v[14:15], v29, s[2:3]
	v_mov_b32_e32 v11, s13
	s_waitcnt vmcnt(2)
	v_add_co_u32_e32 v13, vcc, 1, v2
	v_addc_co_u32_e32 v16, vcc, 0, v3, vcc
	v_add_co_u32_e32 v10, vcc, s12, v13
	v_addc_co_u32_e32 v11, vcc, v16, v11, vcc
	v_cmp_eq_u64_e32 vcc, 0, v[10:11]
	v_cndmask_b32_e32 v11, v11, v16, vcc
	v_cndmask_b32_e32 v10, v10, v13, vcc
	v_and_b32_e32 v3, v11, v3
	v_and_b32_e32 v2, v10, v2
	v_mul_lo_u32 v3, v3, 24
	v_mul_hi_u32 v13, v2, 24
	v_mul_lo_u32 v2, v2, 24
	v_add_u32_e32 v3, v13, v3
	s_waitcnt vmcnt(0)
	v_add_co_u32_e32 v2, vcc, v14, v2
	v_addc_co_u32_e32 v3, vcc, v15, v3, vcc
	v_mov_b32_e32 v12, v6
	global_store_dwordx2 v[2:3], v[6:7], off
	v_mov_b32_e32 v13, v7
	buffer_wbl2
	s_waitcnt vmcnt(0)
	global_atomic_cmpswap_x2 v[12:13], v29, v[10:13], s[2:3] offset:24 glc
	s_waitcnt vmcnt(0)
	v_cmp_ne_u64_e32 vcc, v[12:13], v[6:7]
	s_and_b64 exec, exec, vcc
	s_cbranch_execz .LBB8_27
; %bb.107:                              ;   in Loop: Header=BB8_28 Depth=1
	s_mov_b64 s[0:1], 0
.LBB8_108:                              ;   Parent Loop BB8_28 Depth=1
                                        ; =>  This Inner Loop Header: Depth=2
	s_sleep 1
	global_store_dwordx2 v[2:3], v[12:13], off
	buffer_wbl2
	s_waitcnt vmcnt(0)
	global_atomic_cmpswap_x2 v[6:7], v29, v[10:13], s[2:3] offset:24 glc
	s_waitcnt vmcnt(0)
	v_cmp_eq_u64_e32 vcc, v[6:7], v[12:13]
	s_or_b64 s[0:1], vcc, s[0:1]
	v_pk_mov_b32 v[12:13], v[6:7], v[6:7] op_sel:[0,1]
	s_andn2_b64 exec, exec, s[0:1]
	s_cbranch_execnz .LBB8_108
	s_branch .LBB8_27
.LBB8_109:
	s_branch .LBB8_137
.LBB8_110:
                                        ; implicit-def: $vgpr0_vgpr1
	s_cbranch_execz .LBB8_137
; %bb.111:
	v_readfirstlane_b32 s0, v35
	v_cmp_eq_u32_e64 s[0:1], s0, v35
	v_pk_mov_b32 v[8:9], 0, 0
	s_and_saveexec_b64 s[6:7], s[0:1]
	s_cbranch_execz .LBB8_117
; %bb.112:
	s_waitcnt vmcnt(0)
	v_mov_b32_e32 v0, 0
	global_load_dwordx2 v[10:11], v0, s[2:3] offset:24 glc
	s_waitcnt vmcnt(0)
	buffer_invl2
	buffer_wbinvl1_vol
	global_load_dwordx2 v[2:3], v0, s[2:3] offset:40
	global_load_dwordx2 v[6:7], v0, s[2:3]
	s_waitcnt vmcnt(1)
	v_and_b32_e32 v1, v2, v10
	v_and_b32_e32 v2, v3, v11
	v_mul_lo_u32 v2, v2, 24
	v_mul_hi_u32 v3, v1, 24
	v_mul_lo_u32 v1, v1, 24
	v_add_u32_e32 v3, v3, v2
	s_waitcnt vmcnt(0)
	v_add_co_u32_e32 v2, vcc, v6, v1
	v_addc_co_u32_e32 v3, vcc, v7, v3, vcc
	global_load_dwordx2 v[8:9], v[2:3], off glc
	s_waitcnt vmcnt(0)
	global_atomic_cmpswap_x2 v[8:9], v0, v[8:11], s[2:3] offset:24 glc
	s_waitcnt vmcnt(0)
	buffer_invl2
	buffer_wbinvl1_vol
	v_cmp_ne_u64_e32 vcc, v[8:9], v[10:11]
	s_and_saveexec_b64 s[8:9], vcc
	s_cbranch_execz .LBB8_116
; %bb.113:
	s_mov_b64 s[10:11], 0
.LBB8_114:                              ; =>This Inner Loop Header: Depth=1
	s_sleep 1
	global_load_dwordx2 v[2:3], v0, s[2:3] offset:40
	global_load_dwordx2 v[6:7], v0, s[2:3]
	v_pk_mov_b32 v[10:11], v[8:9], v[8:9] op_sel:[0,1]
	s_waitcnt vmcnt(1)
	v_and_b32_e32 v2, v2, v10
	v_and_b32_e32 v1, v3, v11
	s_waitcnt vmcnt(0)
	v_mad_u64_u32 v[2:3], s[12:13], v2, 24, v[6:7]
	v_mov_b32_e32 v6, v3
	v_mad_u64_u32 v[6:7], s[12:13], v1, 24, v[6:7]
	v_mov_b32_e32 v3, v6
	global_load_dwordx2 v[8:9], v[2:3], off glc
	s_waitcnt vmcnt(0)
	global_atomic_cmpswap_x2 v[8:9], v0, v[8:11], s[2:3] offset:24 glc
	s_waitcnt vmcnt(0)
	buffer_invl2
	buffer_wbinvl1_vol
	v_cmp_eq_u64_e32 vcc, v[8:9], v[10:11]
	s_or_b64 s[10:11], vcc, s[10:11]
	s_andn2_b64 exec, exec, s[10:11]
	s_cbranch_execnz .LBB8_114
; %bb.115:
	s_or_b64 exec, exec, s[10:11]
.LBB8_116:
	s_or_b64 exec, exec, s[8:9]
.LBB8_117:
	s_or_b64 exec, exec, s[6:7]
	v_mov_b32_e32 v6, 0
	global_load_dwordx2 v[10:11], v6, s[2:3] offset:40
	global_load_dwordx4 v[0:3], v6, s[2:3]
	v_readfirstlane_b32 s6, v8
	v_readfirstlane_b32 s7, v9
	s_mov_b64 s[8:9], exec
	s_waitcnt vmcnt(1)
	v_readfirstlane_b32 s10, v10
	v_readfirstlane_b32 s11, v11
	s_and_b64 s[10:11], s[6:7], s[10:11]
	s_mul_i32 s12, s11, 24
	s_mul_hi_u32 s13, s10, 24
	s_mul_i32 s14, s10, 24
	s_add_i32 s12, s13, s12
	v_mov_b32_e32 v7, s12
	s_waitcnt vmcnt(0)
	v_add_co_u32_e32 v8, vcc, s14, v0
	v_addc_co_u32_e32 v9, vcc, v1, v7, vcc
	s_and_saveexec_b64 s[12:13], s[0:1]
	s_cbranch_execz .LBB8_119
; %bb.118:
	v_pk_mov_b32 v[10:11], s[8:9], s[8:9] op_sel:[0,1]
	v_mov_b32_e32 v12, 2
	v_mov_b32_e32 v13, 1
	global_store_dwordx4 v[8:9], v[10:13], off offset:8
.LBB8_119:
	s_or_b64 exec, exec, s[12:13]
	s_lshl_b64 s[8:9], s[10:11], 12
	v_mov_b32_e32 v7, s9
	v_add_co_u32_e32 v2, vcc, s8, v2
	s_movk_i32 s8, 0xff1f
	v_addc_co_u32_e32 v3, vcc, v3, v7, vcc
	v_and_or_b32 v4, v4, s8, 32
	s_mov_b32 s8, 0
	v_add_co_u32_e32 v10, vcc, v2, v34
	v_mov_b32_e32 v7, v6
	v_readfirstlane_b32 s12, v2
	v_readfirstlane_b32 s13, v3
	s_mov_b32 s9, s8
	v_addc_co_u32_e32 v11, vcc, 0, v3, vcc
	s_mov_b32 s10, s8
	s_mov_b32 s11, s8
	s_nop 0
	global_store_dwordx4 v34, v[4:7], s[12:13]
	v_pk_mov_b32 v[2:3], s[8:9], s[8:9] op_sel:[0,1]
	v_pk_mov_b32 v[4:5], s[10:11], s[10:11] op_sel:[0,1]
	global_store_dwordx4 v34, v[2:5], s[12:13] offset:16
	global_store_dwordx4 v34, v[2:5], s[12:13] offset:32
	;; [unrolled: 1-line block ×3, first 2 shown]
	s_and_saveexec_b64 s[8:9], s[0:1]
	s_cbranch_execz .LBB8_127
; %bb.120:
	v_mov_b32_e32 v6, 0
	global_load_dwordx2 v[14:15], v6, s[2:3] offset:32 glc
	global_load_dwordx2 v[2:3], v6, s[2:3] offset:40
	v_mov_b32_e32 v12, s6
	v_mov_b32_e32 v13, s7
	s_waitcnt vmcnt(0)
	v_readfirstlane_b32 s10, v2
	v_readfirstlane_b32 s11, v3
	s_and_b64 s[10:11], s[10:11], s[6:7]
	s_mul_i32 s11, s11, 24
	s_mul_hi_u32 s12, s10, 24
	s_mul_i32 s10, s10, 24
	s_add_i32 s11, s12, s11
	v_mov_b32_e32 v2, s11
	v_add_co_u32_e32 v4, vcc, s10, v0
	v_addc_co_u32_e32 v5, vcc, v1, v2, vcc
	global_store_dwordx2 v[4:5], v[14:15], off
	buffer_wbl2
	s_waitcnt vmcnt(0)
	global_atomic_cmpswap_x2 v[2:3], v6, v[12:15], s[2:3] offset:32 glc
	s_waitcnt vmcnt(0)
	v_cmp_ne_u64_e32 vcc, v[2:3], v[14:15]
	s_and_saveexec_b64 s[10:11], vcc
	s_cbranch_execz .LBB8_123
; %bb.121:
	s_mov_b64 s[12:13], 0
.LBB8_122:                              ; =>This Inner Loop Header: Depth=1
	s_sleep 1
	global_store_dwordx2 v[4:5], v[2:3], off
	v_mov_b32_e32 v0, s6
	v_mov_b32_e32 v1, s7
	buffer_wbl2
	s_waitcnt vmcnt(0)
	global_atomic_cmpswap_x2 v[0:1], v6, v[0:3], s[2:3] offset:32 glc
	s_waitcnt vmcnt(0)
	v_cmp_eq_u64_e32 vcc, v[0:1], v[2:3]
	s_or_b64 s[12:13], vcc, s[12:13]
	v_pk_mov_b32 v[2:3], v[0:1], v[0:1] op_sel:[0,1]
	s_andn2_b64 exec, exec, s[12:13]
	s_cbranch_execnz .LBB8_122
.LBB8_123:
	s_or_b64 exec, exec, s[10:11]
	v_mov_b32_e32 v3, 0
	global_load_dwordx2 v[0:1], v3, s[2:3] offset:16
	s_mov_b64 s[10:11], exec
	v_mbcnt_lo_u32_b32 v2, s10, 0
	v_mbcnt_hi_u32_b32 v2, s11, v2
	v_cmp_eq_u32_e32 vcc, 0, v2
	s_and_saveexec_b64 s[12:13], vcc
	s_cbranch_execz .LBB8_125
; %bb.124:
	s_bcnt1_i32_b64 s10, s[10:11]
	v_mov_b32_e32 v2, s10
	buffer_wbl2
	s_waitcnt vmcnt(0)
	global_atomic_add_x2 v[0:1], v[2:3], off offset:8
.LBB8_125:
	s_or_b64 exec, exec, s[12:13]
	s_waitcnt vmcnt(0)
	global_load_dwordx2 v[2:3], v[0:1], off offset:16
	s_waitcnt vmcnt(0)
	v_cmp_eq_u64_e32 vcc, 0, v[2:3]
	s_cbranch_vccnz .LBB8_127
; %bb.126:
	global_load_dword v0, v[0:1], off offset:24
	v_mov_b32_e32 v1, 0
	buffer_wbl2
	s_waitcnt vmcnt(0)
	global_store_dwordx2 v[2:3], v[0:1], off
	v_and_b32_e32 v0, 0xffffff, v0
	v_readfirstlane_b32 m0, v0
	s_sendmsg sendmsg(MSG_INTERRUPT)
.LBB8_127:
	s_or_b64 exec, exec, s[8:9]
	s_branch .LBB8_131
.LBB8_128:                              ;   in Loop: Header=BB8_131 Depth=1
	s_or_b64 exec, exec, s[8:9]
	v_readfirstlane_b32 s8, v0
	s_cmp_eq_u32 s8, 0
	s_cbranch_scc1 .LBB8_130
; %bb.129:                              ;   in Loop: Header=BB8_131 Depth=1
	s_sleep 1
	s_cbranch_execnz .LBB8_131
	s_branch .LBB8_133
.LBB8_130:
	s_branch .LBB8_133
.LBB8_131:                              ; =>This Inner Loop Header: Depth=1
	v_mov_b32_e32 v0, 1
	s_and_saveexec_b64 s[8:9], s[0:1]
	s_cbranch_execz .LBB8_128
; %bb.132:                              ;   in Loop: Header=BB8_131 Depth=1
	global_load_dword v0, v[8:9], off offset:20 glc
	s_waitcnt vmcnt(0)
	buffer_invl2
	buffer_wbinvl1_vol
	v_and_b32_e32 v0, 1, v0
	s_branch .LBB8_128
.LBB8_133:
	global_load_dwordx2 v[0:1], v[10:11], off
	s_and_saveexec_b64 s[8:9], s[0:1]
	s_cbranch_execz .LBB8_136
; %bb.134:
	v_mov_b32_e32 v8, 0
	global_load_dwordx2 v[6:7], v8, s[2:3] offset:40
	global_load_dwordx2 v[10:11], v8, s[2:3] offset:24 glc
	global_load_dwordx2 v[12:13], v8, s[2:3]
	v_mov_b32_e32 v3, s7
	s_mov_b64 s[0:1], 0
	s_waitcnt vmcnt(2)
	v_add_co_u32_e32 v5, vcc, 1, v6
	v_addc_co_u32_e32 v9, vcc, 0, v7, vcc
	v_add_co_u32_e32 v2, vcc, s6, v5
	v_addc_co_u32_e32 v3, vcc, v9, v3, vcc
	v_cmp_eq_u64_e32 vcc, 0, v[2:3]
	v_cndmask_b32_e32 v3, v3, v9, vcc
	v_cndmask_b32_e32 v2, v2, v5, vcc
	v_and_b32_e32 v5, v3, v7
	v_and_b32_e32 v6, v2, v6
	v_mul_lo_u32 v5, v5, 24
	v_mul_hi_u32 v7, v6, 24
	v_mul_lo_u32 v6, v6, 24
	v_add_u32_e32 v5, v7, v5
	s_waitcnt vmcnt(0)
	v_add_co_u32_e32 v6, vcc, v12, v6
	v_addc_co_u32_e32 v7, vcc, v13, v5, vcc
	v_mov_b32_e32 v4, v10
	global_store_dwordx2 v[6:7], v[10:11], off
	v_mov_b32_e32 v5, v11
	buffer_wbl2
	s_waitcnt vmcnt(0)
	global_atomic_cmpswap_x2 v[4:5], v8, v[2:5], s[2:3] offset:24 glc
	s_waitcnt vmcnt(0)
	v_cmp_ne_u64_e32 vcc, v[4:5], v[10:11]
	s_and_b64 exec, exec, vcc
	s_cbranch_execz .LBB8_136
.LBB8_135:                              ; =>This Inner Loop Header: Depth=1
	s_sleep 1
	global_store_dwordx2 v[6:7], v[4:5], off
	buffer_wbl2
	s_waitcnt vmcnt(0)
	global_atomic_cmpswap_x2 v[10:11], v8, v[2:5], s[2:3] offset:24 glc
	s_waitcnt vmcnt(0)
	v_cmp_eq_u64_e32 vcc, v[10:11], v[4:5]
	s_or_b64 s[0:1], vcc, s[0:1]
	v_pk_mov_b32 v[4:5], v[10:11], v[10:11] op_sel:[0,1]
	s_andn2_b64 exec, exec, s[0:1]
	s_cbranch_execnz .LBB8_135
.LBB8_136:
	s_or_b64 exec, exec, s[8:9]
.LBB8_137:
	s_getpc_b64 s[8:9]
	s_add_u32 s8, s8, .str.10@rel32@lo+4
	s_addc_u32 s9, s9, .str.10@rel32@hi+12
	s_cmp_lg_u64 s[8:9], 0
	s_cselect_b64 s[6:7], -1, 0
	s_and_b64 vcc, exec, s[6:7]
	s_cbranch_vccz .LBB8_222
; %bb.138:
	s_waitcnt vmcnt(0)
	v_and_b32_e32 v28, 2, v0
	v_mov_b32_e32 v31, 0
	v_and_b32_e32 v2, -3, v0
	v_mov_b32_e32 v3, v1
	s_mov_b64 s[10:11], 52
	v_mov_b32_e32 v6, 2
	v_mov_b32_e32 v7, 1
	s_branch .LBB8_140
.LBB8_139:                              ;   in Loop: Header=BB8_140 Depth=1
	s_or_b64 exec, exec, s[16:17]
	s_sub_u32 s10, s10, s12
	s_subb_u32 s11, s11, s13
	s_add_u32 s8, s8, s12
	s_addc_u32 s9, s9, s13
	s_cmp_lg_u64 s[10:11], 0
	s_cbranch_scc0 .LBB8_221
.LBB8_140:                              ; =>This Loop Header: Depth=1
                                        ;     Child Loop BB8_143 Depth 2
                                        ;     Child Loop BB8_150 Depth 2
	;; [unrolled: 1-line block ×11, first 2 shown]
	v_cmp_lt_u64_e64 s[0:1], s[10:11], 56
	s_and_b64 s[0:1], s[0:1], exec
	v_cmp_gt_u64_e64 s[0:1], s[10:11], 7
	s_cselect_b32 s13, s11, 0
	s_cselect_b32 s12, s10, 56
	s_and_b64 vcc, exec, s[0:1]
	s_cbranch_vccnz .LBB8_145
; %bb.141:                              ;   in Loop: Header=BB8_140 Depth=1
	s_mov_b64 s[0:1], 0
	s_cmp_eq_u64 s[10:11], 0
	v_pk_mov_b32 v[10:11], 0, 0
	s_cbranch_scc1 .LBB8_144
; %bb.142:                              ;   in Loop: Header=BB8_140 Depth=1
	s_lshl_b64 s[14:15], s[12:13], 3
	s_mov_b64 s[16:17], 0
	v_pk_mov_b32 v[10:11], 0, 0
	s_mov_b64 s[18:19], s[8:9]
.LBB8_143:                              ;   Parent Loop BB8_140 Depth=1
                                        ; =>  This Inner Loop Header: Depth=2
	global_load_ubyte v4, v31, s[18:19]
	s_waitcnt vmcnt(0)
	v_and_b32_e32 v30, 0xffff, v4
	v_lshlrev_b64 v[4:5], s16, v[30:31]
	s_add_u32 s16, s16, 8
	s_addc_u32 s17, s17, 0
	s_add_u32 s18, s18, 1
	s_addc_u32 s19, s19, 0
	v_or_b32_e32 v10, v4, v10
	s_cmp_lg_u32 s14, s16
	v_or_b32_e32 v11, v5, v11
	s_cbranch_scc1 .LBB8_143
.LBB8_144:                              ;   in Loop: Header=BB8_140 Depth=1
	s_mov_b32 s18, 0
	s_andn2_b64 vcc, exec, s[0:1]
	s_mov_b64 s[0:1], s[8:9]
	s_cbranch_vccz .LBB8_146
	s_branch .LBB8_147
.LBB8_145:                              ;   in Loop: Header=BB8_140 Depth=1
                                        ; implicit-def: $vgpr10_vgpr11
                                        ; implicit-def: $sgpr18
	s_mov_b64 s[0:1], s[8:9]
.LBB8_146:                              ;   in Loop: Header=BB8_140 Depth=1
	global_load_dwordx2 v[10:11], v31, s[8:9]
	s_add_i32 s18, s12, -8
	s_add_u32 s0, s8, 8
	s_addc_u32 s1, s9, 0
.LBB8_147:                              ;   in Loop: Header=BB8_140 Depth=1
	s_cmp_gt_u32 s18, 7
	s_cbranch_scc1 .LBB8_151
; %bb.148:                              ;   in Loop: Header=BB8_140 Depth=1
	s_cmp_eq_u32 s18, 0
	s_cbranch_scc1 .LBB8_152
; %bb.149:                              ;   in Loop: Header=BB8_140 Depth=1
	s_mov_b64 s[14:15], 0
	v_pk_mov_b32 v[12:13], 0, 0
	s_mov_b64 s[16:17], 0
.LBB8_150:                              ;   Parent Loop BB8_140 Depth=1
                                        ; =>  This Inner Loop Header: Depth=2
	s_add_u32 s20, s0, s16
	s_addc_u32 s21, s1, s17
	global_load_ubyte v4, v31, s[20:21]
	s_add_u32 s16, s16, 1
	s_addc_u32 s17, s17, 0
	s_waitcnt vmcnt(0)
	v_and_b32_e32 v30, 0xffff, v4
	v_lshlrev_b64 v[4:5], s14, v[30:31]
	s_add_u32 s14, s14, 8
	s_addc_u32 s15, s15, 0
	v_or_b32_e32 v12, v4, v12
	s_cmp_lg_u32 s18, s16
	v_or_b32_e32 v13, v5, v13
	s_cbranch_scc1 .LBB8_150
	s_branch .LBB8_153
.LBB8_151:                              ;   in Loop: Header=BB8_140 Depth=1
                                        ; implicit-def: $vgpr12_vgpr13
                                        ; implicit-def: $sgpr19
	s_branch .LBB8_154
.LBB8_152:                              ;   in Loop: Header=BB8_140 Depth=1
	v_pk_mov_b32 v[12:13], 0, 0
.LBB8_153:                              ;   in Loop: Header=BB8_140 Depth=1
	s_mov_b32 s19, 0
	s_cbranch_execnz .LBB8_155
.LBB8_154:                              ;   in Loop: Header=BB8_140 Depth=1
	global_load_dwordx2 v[12:13], v31, s[0:1]
	s_add_i32 s19, s18, -8
	s_add_u32 s0, s0, 8
	s_addc_u32 s1, s1, 0
.LBB8_155:                              ;   in Loop: Header=BB8_140 Depth=1
	s_cmp_gt_u32 s19, 7
	s_cbranch_scc1 .LBB8_159
; %bb.156:                              ;   in Loop: Header=BB8_140 Depth=1
	s_cmp_eq_u32 s19, 0
	s_cbranch_scc1 .LBB8_160
; %bb.157:                              ;   in Loop: Header=BB8_140 Depth=1
	s_mov_b64 s[14:15], 0
	v_pk_mov_b32 v[14:15], 0, 0
	s_mov_b64 s[16:17], 0
.LBB8_158:                              ;   Parent Loop BB8_140 Depth=1
                                        ; =>  This Inner Loop Header: Depth=2
	s_add_u32 s20, s0, s16
	s_addc_u32 s21, s1, s17
	global_load_ubyte v4, v31, s[20:21]
	s_add_u32 s16, s16, 1
	s_addc_u32 s17, s17, 0
	s_waitcnt vmcnt(0)
	v_and_b32_e32 v30, 0xffff, v4
	v_lshlrev_b64 v[4:5], s14, v[30:31]
	s_add_u32 s14, s14, 8
	s_addc_u32 s15, s15, 0
	v_or_b32_e32 v14, v4, v14
	s_cmp_lg_u32 s19, s16
	v_or_b32_e32 v15, v5, v15
	s_cbranch_scc1 .LBB8_158
	s_branch .LBB8_161
.LBB8_159:                              ;   in Loop: Header=BB8_140 Depth=1
                                        ; implicit-def: $sgpr18
	s_branch .LBB8_162
.LBB8_160:                              ;   in Loop: Header=BB8_140 Depth=1
	v_pk_mov_b32 v[14:15], 0, 0
.LBB8_161:                              ;   in Loop: Header=BB8_140 Depth=1
	s_mov_b32 s18, 0
	s_cbranch_execnz .LBB8_163
.LBB8_162:                              ;   in Loop: Header=BB8_140 Depth=1
	global_load_dwordx2 v[14:15], v31, s[0:1]
	s_add_i32 s18, s19, -8
	s_add_u32 s0, s0, 8
	s_addc_u32 s1, s1, 0
.LBB8_163:                              ;   in Loop: Header=BB8_140 Depth=1
	s_cmp_gt_u32 s18, 7
	s_cbranch_scc1 .LBB8_167
; %bb.164:                              ;   in Loop: Header=BB8_140 Depth=1
	s_cmp_eq_u32 s18, 0
	s_cbranch_scc1 .LBB8_168
; %bb.165:                              ;   in Loop: Header=BB8_140 Depth=1
	s_mov_b64 s[14:15], 0
	v_pk_mov_b32 v[16:17], 0, 0
	s_mov_b64 s[16:17], 0
.LBB8_166:                              ;   Parent Loop BB8_140 Depth=1
                                        ; =>  This Inner Loop Header: Depth=2
	s_add_u32 s20, s0, s16
	s_addc_u32 s21, s1, s17
	global_load_ubyte v4, v31, s[20:21]
	s_add_u32 s16, s16, 1
	s_addc_u32 s17, s17, 0
	s_waitcnt vmcnt(0)
	v_and_b32_e32 v30, 0xffff, v4
	v_lshlrev_b64 v[4:5], s14, v[30:31]
	s_add_u32 s14, s14, 8
	s_addc_u32 s15, s15, 0
	v_or_b32_e32 v16, v4, v16
	s_cmp_lg_u32 s18, s16
	v_or_b32_e32 v17, v5, v17
	s_cbranch_scc1 .LBB8_166
	s_branch .LBB8_169
.LBB8_167:                              ;   in Loop: Header=BB8_140 Depth=1
                                        ; implicit-def: $vgpr16_vgpr17
                                        ; implicit-def: $sgpr19
	s_branch .LBB8_170
.LBB8_168:                              ;   in Loop: Header=BB8_140 Depth=1
	v_pk_mov_b32 v[16:17], 0, 0
.LBB8_169:                              ;   in Loop: Header=BB8_140 Depth=1
	s_mov_b32 s19, 0
	s_cbranch_execnz .LBB8_171
.LBB8_170:                              ;   in Loop: Header=BB8_140 Depth=1
	global_load_dwordx2 v[16:17], v31, s[0:1]
	s_add_i32 s19, s18, -8
	s_add_u32 s0, s0, 8
	s_addc_u32 s1, s1, 0
.LBB8_171:                              ;   in Loop: Header=BB8_140 Depth=1
	s_cmp_gt_u32 s19, 7
	s_cbranch_scc1 .LBB8_175
; %bb.172:                              ;   in Loop: Header=BB8_140 Depth=1
	s_cmp_eq_u32 s19, 0
	s_cbranch_scc1 .LBB8_176
; %bb.173:                              ;   in Loop: Header=BB8_140 Depth=1
	s_mov_b64 s[14:15], 0
	v_pk_mov_b32 v[18:19], 0, 0
	s_mov_b64 s[16:17], 0
.LBB8_174:                              ;   Parent Loop BB8_140 Depth=1
                                        ; =>  This Inner Loop Header: Depth=2
	s_add_u32 s20, s0, s16
	s_addc_u32 s21, s1, s17
	global_load_ubyte v4, v31, s[20:21]
	s_add_u32 s16, s16, 1
	s_addc_u32 s17, s17, 0
	s_waitcnt vmcnt(0)
	v_and_b32_e32 v30, 0xffff, v4
	v_lshlrev_b64 v[4:5], s14, v[30:31]
	s_add_u32 s14, s14, 8
	s_addc_u32 s15, s15, 0
	v_or_b32_e32 v18, v4, v18
	s_cmp_lg_u32 s19, s16
	v_or_b32_e32 v19, v5, v19
	s_cbranch_scc1 .LBB8_174
	s_branch .LBB8_177
.LBB8_175:                              ;   in Loop: Header=BB8_140 Depth=1
                                        ; implicit-def: $sgpr18
	s_branch .LBB8_178
.LBB8_176:                              ;   in Loop: Header=BB8_140 Depth=1
	v_pk_mov_b32 v[18:19], 0, 0
.LBB8_177:                              ;   in Loop: Header=BB8_140 Depth=1
	s_mov_b32 s18, 0
	s_cbranch_execnz .LBB8_179
.LBB8_178:                              ;   in Loop: Header=BB8_140 Depth=1
	global_load_dwordx2 v[18:19], v31, s[0:1]
	s_add_i32 s18, s19, -8
	s_add_u32 s0, s0, 8
	s_addc_u32 s1, s1, 0
.LBB8_179:                              ;   in Loop: Header=BB8_140 Depth=1
	s_cmp_gt_u32 s18, 7
	s_cbranch_scc1 .LBB8_183
; %bb.180:                              ;   in Loop: Header=BB8_140 Depth=1
	s_cmp_eq_u32 s18, 0
	s_cbranch_scc1 .LBB8_184
; %bb.181:                              ;   in Loop: Header=BB8_140 Depth=1
	s_mov_b64 s[14:15], 0
	v_pk_mov_b32 v[20:21], 0, 0
	s_mov_b64 s[16:17], 0
.LBB8_182:                              ;   Parent Loop BB8_140 Depth=1
                                        ; =>  This Inner Loop Header: Depth=2
	s_add_u32 s20, s0, s16
	s_addc_u32 s21, s1, s17
	global_load_ubyte v4, v31, s[20:21]
	s_add_u32 s16, s16, 1
	s_addc_u32 s17, s17, 0
	s_waitcnt vmcnt(0)
	v_and_b32_e32 v30, 0xffff, v4
	v_lshlrev_b64 v[4:5], s14, v[30:31]
	s_add_u32 s14, s14, 8
	s_addc_u32 s15, s15, 0
	v_or_b32_e32 v20, v4, v20
	s_cmp_lg_u32 s18, s16
	v_or_b32_e32 v21, v5, v21
	s_cbranch_scc1 .LBB8_182
	s_branch .LBB8_185
.LBB8_183:                              ;   in Loop: Header=BB8_140 Depth=1
                                        ; implicit-def: $vgpr20_vgpr21
                                        ; implicit-def: $sgpr19
	s_branch .LBB8_186
.LBB8_184:                              ;   in Loop: Header=BB8_140 Depth=1
	v_pk_mov_b32 v[20:21], 0, 0
.LBB8_185:                              ;   in Loop: Header=BB8_140 Depth=1
	s_mov_b32 s19, 0
	s_cbranch_execnz .LBB8_187
.LBB8_186:                              ;   in Loop: Header=BB8_140 Depth=1
	global_load_dwordx2 v[20:21], v31, s[0:1]
	s_add_i32 s19, s18, -8
	s_add_u32 s0, s0, 8
	s_addc_u32 s1, s1, 0
.LBB8_187:                              ;   in Loop: Header=BB8_140 Depth=1
	s_cmp_gt_u32 s19, 7
	s_cbranch_scc1 .LBB8_191
; %bb.188:                              ;   in Loop: Header=BB8_140 Depth=1
	s_cmp_eq_u32 s19, 0
	s_cbranch_scc1 .LBB8_192
; %bb.189:                              ;   in Loop: Header=BB8_140 Depth=1
	s_mov_b64 s[14:15], 0
	v_pk_mov_b32 v[22:23], 0, 0
	s_mov_b64 s[16:17], s[0:1]
.LBB8_190:                              ;   Parent Loop BB8_140 Depth=1
                                        ; =>  This Inner Loop Header: Depth=2
	global_load_ubyte v4, v31, s[16:17]
	s_add_i32 s19, s19, -1
	s_waitcnt vmcnt(0)
	v_and_b32_e32 v30, 0xffff, v4
	v_lshlrev_b64 v[4:5], s14, v[30:31]
	s_add_u32 s14, s14, 8
	s_addc_u32 s15, s15, 0
	s_add_u32 s16, s16, 1
	s_addc_u32 s17, s17, 0
	v_or_b32_e32 v22, v4, v22
	s_cmp_lg_u32 s19, 0
	v_or_b32_e32 v23, v5, v23
	s_cbranch_scc1 .LBB8_190
	s_branch .LBB8_193
.LBB8_191:                              ;   in Loop: Header=BB8_140 Depth=1
	s_branch .LBB8_194
.LBB8_192:                              ;   in Loop: Header=BB8_140 Depth=1
	v_pk_mov_b32 v[22:23], 0, 0
.LBB8_193:                              ;   in Loop: Header=BB8_140 Depth=1
	s_cbranch_execnz .LBB8_195
.LBB8_194:                              ;   in Loop: Header=BB8_140 Depth=1
	global_load_dwordx2 v[22:23], v31, s[0:1]
.LBB8_195:                              ;   in Loop: Header=BB8_140 Depth=1
	v_readfirstlane_b32 s0, v35
	v_cmp_eq_u32_e64 s[0:1], s0, v35
	s_waitcnt vmcnt(0)
	v_pk_mov_b32 v[4:5], 0, 0
	s_and_saveexec_b64 s[14:15], s[0:1]
	s_cbranch_execz .LBB8_201
; %bb.196:                              ;   in Loop: Header=BB8_140 Depth=1
	global_load_dwordx2 v[26:27], v31, s[2:3] offset:24 glc
	s_waitcnt vmcnt(0)
	buffer_invl2
	buffer_wbinvl1_vol
	global_load_dwordx2 v[4:5], v31, s[2:3] offset:40
	global_load_dwordx2 v[8:9], v31, s[2:3]
	s_waitcnt vmcnt(1)
	v_and_b32_e32 v4, v4, v26
	v_and_b32_e32 v5, v5, v27
	v_mul_lo_u32 v5, v5, 24
	v_mul_hi_u32 v24, v4, 24
	v_mul_lo_u32 v4, v4, 24
	v_add_u32_e32 v5, v24, v5
	s_waitcnt vmcnt(0)
	v_add_co_u32_e32 v4, vcc, v8, v4
	v_addc_co_u32_e32 v5, vcc, v9, v5, vcc
	global_load_dwordx2 v[24:25], v[4:5], off glc
	s_waitcnt vmcnt(0)
	global_atomic_cmpswap_x2 v[4:5], v31, v[24:27], s[2:3] offset:24 glc
	s_waitcnt vmcnt(0)
	buffer_invl2
	buffer_wbinvl1_vol
	v_cmp_ne_u64_e32 vcc, v[4:5], v[26:27]
	s_and_saveexec_b64 s[16:17], vcc
	s_cbranch_execz .LBB8_200
; %bb.197:                              ;   in Loop: Header=BB8_140 Depth=1
	s_mov_b64 s[18:19], 0
.LBB8_198:                              ;   Parent Loop BB8_140 Depth=1
                                        ; =>  This Inner Loop Header: Depth=2
	s_sleep 1
	global_load_dwordx2 v[8:9], v31, s[2:3] offset:40
	global_load_dwordx2 v[24:25], v31, s[2:3]
	v_pk_mov_b32 v[26:27], v[4:5], v[4:5] op_sel:[0,1]
	s_waitcnt vmcnt(1)
	v_and_b32_e32 v4, v8, v26
	s_waitcnt vmcnt(0)
	v_mad_u64_u32 v[4:5], s[20:21], v4, 24, v[24:25]
	v_and_b32_e32 v9, v9, v27
	v_mov_b32_e32 v8, v5
	v_mad_u64_u32 v[8:9], s[20:21], v9, 24, v[8:9]
	v_mov_b32_e32 v5, v8
	global_load_dwordx2 v[24:25], v[4:5], off glc
	s_waitcnt vmcnt(0)
	global_atomic_cmpswap_x2 v[4:5], v31, v[24:27], s[2:3] offset:24 glc
	s_waitcnt vmcnt(0)
	buffer_invl2
	buffer_wbinvl1_vol
	v_cmp_eq_u64_e32 vcc, v[4:5], v[26:27]
	s_or_b64 s[18:19], vcc, s[18:19]
	s_andn2_b64 exec, exec, s[18:19]
	s_cbranch_execnz .LBB8_198
; %bb.199:                              ;   in Loop: Header=BB8_140 Depth=1
	s_or_b64 exec, exec, s[18:19]
.LBB8_200:                              ;   in Loop: Header=BB8_140 Depth=1
	s_or_b64 exec, exec, s[16:17]
.LBB8_201:                              ;   in Loop: Header=BB8_140 Depth=1
	s_or_b64 exec, exec, s[14:15]
	global_load_dwordx2 v[8:9], v31, s[2:3] offset:40
	global_load_dwordx4 v[24:27], v31, s[2:3]
	v_readfirstlane_b32 s14, v4
	v_readfirstlane_b32 s15, v5
	s_mov_b64 s[16:17], exec
	s_waitcnt vmcnt(1)
	v_readfirstlane_b32 s18, v8
	v_readfirstlane_b32 s19, v9
	s_and_b64 s[18:19], s[14:15], s[18:19]
	s_mul_i32 s20, s19, 24
	s_mul_hi_u32 s21, s18, 24
	s_mul_i32 s22, s18, 24
	s_add_i32 s20, s21, s20
	v_mov_b32_e32 v4, s20
	s_waitcnt vmcnt(0)
	v_add_co_u32_e32 v32, vcc, s22, v24
	v_addc_co_u32_e32 v33, vcc, v25, v4, vcc
	s_and_saveexec_b64 s[20:21], s[0:1]
	s_cbranch_execz .LBB8_203
; %bb.202:                              ;   in Loop: Header=BB8_140 Depth=1
	v_pk_mov_b32 v[4:5], s[16:17], s[16:17] op_sel:[0,1]
	global_store_dwordx4 v[32:33], v[4:7], off offset:8
.LBB8_203:                              ;   in Loop: Header=BB8_140 Depth=1
	s_or_b64 exec, exec, s[20:21]
	s_lshl_b64 s[16:17], s[18:19], 12
	v_mov_b32_e32 v4, s17
	v_add_co_u32_e32 v26, vcc, s16, v26
	v_addc_co_u32_e32 v27, vcc, v27, v4, vcc
	v_or_b32_e32 v5, v2, v28
	v_cmp_gt_u64_e64 vcc, s[10:11], 56
	s_lshl_b32 s16, s12, 2
	v_cndmask_b32_e32 v2, v5, v2, vcc
	s_add_i32 s16, s16, 28
	v_or_b32_e32 v4, 0, v3
	s_and_b32 s16, s16, 0x1e0
	v_and_b32_e32 v2, 0xffffff1f, v2
	v_cndmask_b32_e32 v9, v4, v3, vcc
	v_or_b32_e32 v8, s16, v2
	v_readfirstlane_b32 s16, v26
	v_readfirstlane_b32 s17, v27
	s_nop 4
	global_store_dwordx4 v34, v[8:11], s[16:17]
	global_store_dwordx4 v34, v[12:15], s[16:17] offset:16
	global_store_dwordx4 v34, v[16:19], s[16:17] offset:32
	;; [unrolled: 1-line block ×3, first 2 shown]
	s_and_saveexec_b64 s[16:17], s[0:1]
	s_cbranch_execz .LBB8_211
; %bb.204:                              ;   in Loop: Header=BB8_140 Depth=1
	global_load_dwordx2 v[12:13], v31, s[2:3] offset:32 glc
	global_load_dwordx2 v[2:3], v31, s[2:3] offset:40
	v_mov_b32_e32 v10, s14
	v_mov_b32_e32 v11, s15
	s_waitcnt vmcnt(0)
	v_readfirstlane_b32 s18, v2
	v_readfirstlane_b32 s19, v3
	s_and_b64 s[18:19], s[18:19], s[14:15]
	s_mul_i32 s19, s19, 24
	s_mul_hi_u32 s20, s18, 24
	s_mul_i32 s18, s18, 24
	s_add_i32 s19, s20, s19
	v_mov_b32_e32 v2, s19
	v_add_co_u32_e32 v8, vcc, s18, v24
	v_addc_co_u32_e32 v9, vcc, v25, v2, vcc
	global_store_dwordx2 v[8:9], v[12:13], off
	buffer_wbl2
	s_waitcnt vmcnt(0)
	global_atomic_cmpswap_x2 v[4:5], v31, v[10:13], s[2:3] offset:32 glc
	s_waitcnt vmcnt(0)
	v_cmp_ne_u64_e32 vcc, v[4:5], v[12:13]
	s_and_saveexec_b64 s[18:19], vcc
	s_cbranch_execz .LBB8_207
; %bb.205:                              ;   in Loop: Header=BB8_140 Depth=1
	s_mov_b64 s[20:21], 0
.LBB8_206:                              ;   Parent Loop BB8_140 Depth=1
                                        ; =>  This Inner Loop Header: Depth=2
	s_sleep 1
	global_store_dwordx2 v[8:9], v[4:5], off
	v_mov_b32_e32 v2, s14
	v_mov_b32_e32 v3, s15
	buffer_wbl2
	s_waitcnt vmcnt(0)
	global_atomic_cmpswap_x2 v[2:3], v31, v[2:5], s[2:3] offset:32 glc
	s_waitcnt vmcnt(0)
	v_cmp_eq_u64_e32 vcc, v[2:3], v[4:5]
	s_or_b64 s[20:21], vcc, s[20:21]
	v_pk_mov_b32 v[4:5], v[2:3], v[2:3] op_sel:[0,1]
	s_andn2_b64 exec, exec, s[20:21]
	s_cbranch_execnz .LBB8_206
.LBB8_207:                              ;   in Loop: Header=BB8_140 Depth=1
	s_or_b64 exec, exec, s[18:19]
	global_load_dwordx2 v[2:3], v31, s[2:3] offset:16
	s_mov_b64 s[20:21], exec
	v_mbcnt_lo_u32_b32 v4, s20, 0
	v_mbcnt_hi_u32_b32 v4, s21, v4
	v_cmp_eq_u32_e32 vcc, 0, v4
	s_and_saveexec_b64 s[18:19], vcc
	s_cbranch_execz .LBB8_209
; %bb.208:                              ;   in Loop: Header=BB8_140 Depth=1
	s_bcnt1_i32_b64 s20, s[20:21]
	v_mov_b32_e32 v30, s20
	buffer_wbl2
	s_waitcnt vmcnt(0)
	global_atomic_add_x2 v[2:3], v[30:31], off offset:8
.LBB8_209:                              ;   in Loop: Header=BB8_140 Depth=1
	s_or_b64 exec, exec, s[18:19]
	s_waitcnt vmcnt(0)
	global_load_dwordx2 v[4:5], v[2:3], off offset:16
	s_waitcnt vmcnt(0)
	v_cmp_eq_u64_e32 vcc, 0, v[4:5]
	s_cbranch_vccnz .LBB8_211
; %bb.210:                              ;   in Loop: Header=BB8_140 Depth=1
	global_load_dword v30, v[2:3], off offset:24
	s_waitcnt vmcnt(0)
	v_and_b32_e32 v2, 0xffffff, v30
	v_readfirstlane_b32 m0, v2
	buffer_wbl2
	global_store_dwordx2 v[4:5], v[30:31], off
	s_sendmsg sendmsg(MSG_INTERRUPT)
.LBB8_211:                              ;   in Loop: Header=BB8_140 Depth=1
	s_or_b64 exec, exec, s[16:17]
	v_add_co_u32_e32 v2, vcc, v26, v34
	v_addc_co_u32_e32 v3, vcc, 0, v27, vcc
	s_branch .LBB8_215
.LBB8_212:                              ;   in Loop: Header=BB8_215 Depth=2
	s_or_b64 exec, exec, s[16:17]
	v_readfirstlane_b32 s16, v4
	s_cmp_eq_u32 s16, 0
	s_cbranch_scc1 .LBB8_214
; %bb.213:                              ;   in Loop: Header=BB8_215 Depth=2
	s_sleep 1
	s_cbranch_execnz .LBB8_215
	s_branch .LBB8_217
.LBB8_214:                              ;   in Loop: Header=BB8_140 Depth=1
	s_branch .LBB8_217
.LBB8_215:                              ;   Parent Loop BB8_140 Depth=1
                                        ; =>  This Inner Loop Header: Depth=2
	v_mov_b32_e32 v4, 1
	s_and_saveexec_b64 s[16:17], s[0:1]
	s_cbranch_execz .LBB8_212
; %bb.216:                              ;   in Loop: Header=BB8_215 Depth=2
	global_load_dword v4, v[32:33], off offset:20 glc
	s_waitcnt vmcnt(0)
	buffer_invl2
	buffer_wbinvl1_vol
	v_and_b32_e32 v4, 1, v4
	s_branch .LBB8_212
.LBB8_217:                              ;   in Loop: Header=BB8_140 Depth=1
	global_load_dwordx4 v[2:5], v[2:3], off
	s_and_saveexec_b64 s[16:17], s[0:1]
	s_cbranch_execz .LBB8_139
; %bb.218:                              ;   in Loop: Header=BB8_140 Depth=1
	global_load_dwordx2 v[4:5], v31, s[2:3] offset:40
	global_load_dwordx2 v[12:13], v31, s[2:3] offset:24 glc
	global_load_dwordx2 v[14:15], v31, s[2:3]
	v_mov_b32_e32 v9, s15
	s_waitcnt vmcnt(2)
	v_add_co_u32_e32 v11, vcc, 1, v4
	v_addc_co_u32_e32 v16, vcc, 0, v5, vcc
	v_add_co_u32_e32 v8, vcc, s14, v11
	v_addc_co_u32_e32 v9, vcc, v16, v9, vcc
	v_cmp_eq_u64_e32 vcc, 0, v[8:9]
	v_cndmask_b32_e32 v9, v9, v16, vcc
	v_cndmask_b32_e32 v8, v8, v11, vcc
	v_and_b32_e32 v5, v9, v5
	v_and_b32_e32 v4, v8, v4
	v_mul_lo_u32 v5, v5, 24
	v_mul_hi_u32 v11, v4, 24
	v_mul_lo_u32 v4, v4, 24
	v_add_u32_e32 v5, v11, v5
	s_waitcnt vmcnt(0)
	v_add_co_u32_e32 v4, vcc, v14, v4
	v_addc_co_u32_e32 v5, vcc, v15, v5, vcc
	v_mov_b32_e32 v10, v12
	global_store_dwordx2 v[4:5], v[12:13], off
	v_mov_b32_e32 v11, v13
	buffer_wbl2
	s_waitcnt vmcnt(0)
	global_atomic_cmpswap_x2 v[10:11], v31, v[8:11], s[2:3] offset:24 glc
	s_waitcnt vmcnt(0)
	v_cmp_ne_u64_e32 vcc, v[10:11], v[12:13]
	s_and_b64 exec, exec, vcc
	s_cbranch_execz .LBB8_139
; %bb.219:                              ;   in Loop: Header=BB8_140 Depth=1
	s_mov_b64 s[0:1], 0
.LBB8_220:                              ;   Parent Loop BB8_140 Depth=1
                                        ; =>  This Inner Loop Header: Depth=2
	s_sleep 1
	global_store_dwordx2 v[4:5], v[10:11], off
	buffer_wbl2
	s_waitcnt vmcnt(0)
	global_atomic_cmpswap_x2 v[12:13], v31, v[8:11], s[2:3] offset:24 glc
	s_waitcnt vmcnt(0)
	v_cmp_eq_u64_e32 vcc, v[12:13], v[10:11]
	s_or_b64 s[0:1], vcc, s[0:1]
	v_pk_mov_b32 v[10:11], v[12:13], v[12:13] op_sel:[0,1]
	s_andn2_b64 exec, exec, s[0:1]
	s_cbranch_execnz .LBB8_220
	s_branch .LBB8_139
.LBB8_221:
	s_branch .LBB8_249
.LBB8_222:
                                        ; implicit-def: $vgpr2_vgpr3
	s_cbranch_execz .LBB8_249
; %bb.223:
	v_readfirstlane_b32 s0, v35
	v_cmp_eq_u32_e64 s[0:1], s0, v35
	v_pk_mov_b32 v[8:9], 0, 0
	s_and_saveexec_b64 s[8:9], s[0:1]
	s_cbranch_execz .LBB8_229
; %bb.224:
	s_waitcnt vmcnt(0)
	v_mov_b32_e32 v2, 0
	global_load_dwordx2 v[6:7], v2, s[2:3] offset:24 glc
	s_waitcnt vmcnt(0)
	buffer_invl2
	buffer_wbinvl1_vol
	global_load_dwordx2 v[4:5], v2, s[2:3] offset:40
	global_load_dwordx2 v[8:9], v2, s[2:3]
	s_waitcnt vmcnt(1)
	v_and_b32_e32 v3, v4, v6
	v_and_b32_e32 v4, v5, v7
	v_mul_lo_u32 v4, v4, 24
	v_mul_hi_u32 v5, v3, 24
	v_mul_lo_u32 v3, v3, 24
	v_add_u32_e32 v5, v5, v4
	s_waitcnt vmcnt(0)
	v_add_co_u32_e32 v4, vcc, v8, v3
	v_addc_co_u32_e32 v5, vcc, v9, v5, vcc
	global_load_dwordx2 v[4:5], v[4:5], off glc
	s_waitcnt vmcnt(0)
	global_atomic_cmpswap_x2 v[8:9], v2, v[4:7], s[2:3] offset:24 glc
	s_waitcnt vmcnt(0)
	buffer_invl2
	buffer_wbinvl1_vol
	v_cmp_ne_u64_e32 vcc, v[8:9], v[6:7]
	s_and_saveexec_b64 s[10:11], vcc
	s_cbranch_execz .LBB8_228
; %bb.225:
	s_mov_b64 s[12:13], 0
.LBB8_226:                              ; =>This Inner Loop Header: Depth=1
	s_sleep 1
	global_load_dwordx2 v[4:5], v2, s[2:3] offset:40
	global_load_dwordx2 v[10:11], v2, s[2:3]
	v_pk_mov_b32 v[6:7], v[8:9], v[8:9] op_sel:[0,1]
	s_waitcnt vmcnt(1)
	v_and_b32_e32 v4, v4, v6
	v_and_b32_e32 v3, v5, v7
	s_waitcnt vmcnt(0)
	v_mad_u64_u32 v[4:5], s[14:15], v4, 24, v[10:11]
	v_mov_b32_e32 v8, v5
	v_mad_u64_u32 v[8:9], s[14:15], v3, 24, v[8:9]
	v_mov_b32_e32 v5, v8
	global_load_dwordx2 v[4:5], v[4:5], off glc
	s_waitcnt vmcnt(0)
	global_atomic_cmpswap_x2 v[8:9], v2, v[4:7], s[2:3] offset:24 glc
	s_waitcnt vmcnt(0)
	buffer_invl2
	buffer_wbinvl1_vol
	v_cmp_eq_u64_e32 vcc, v[8:9], v[6:7]
	s_or_b64 s[12:13], vcc, s[12:13]
	s_andn2_b64 exec, exec, s[12:13]
	s_cbranch_execnz .LBB8_226
; %bb.227:
	s_or_b64 exec, exec, s[12:13]
.LBB8_228:
	s_or_b64 exec, exec, s[10:11]
.LBB8_229:
	s_or_b64 exec, exec, s[8:9]
	s_waitcnt vmcnt(0)
	v_mov_b32_e32 v2, 0
	global_load_dwordx2 v[10:11], v2, s[2:3] offset:40
	global_load_dwordx4 v[4:7], v2, s[2:3]
	v_readfirstlane_b32 s8, v8
	v_readfirstlane_b32 s9, v9
	s_mov_b64 s[10:11], exec
	s_waitcnt vmcnt(1)
	v_readfirstlane_b32 s12, v10
	v_readfirstlane_b32 s13, v11
	s_and_b64 s[12:13], s[8:9], s[12:13]
	s_mul_i32 s14, s13, 24
	s_mul_hi_u32 s15, s12, 24
	s_mul_i32 s16, s12, 24
	s_add_i32 s14, s15, s14
	v_mov_b32_e32 v3, s14
	s_waitcnt vmcnt(0)
	v_add_co_u32_e32 v8, vcc, s16, v4
	v_addc_co_u32_e32 v9, vcc, v5, v3, vcc
	s_and_saveexec_b64 s[14:15], s[0:1]
	s_cbranch_execz .LBB8_231
; %bb.230:
	v_pk_mov_b32 v[10:11], s[10:11], s[10:11] op_sel:[0,1]
	v_mov_b32_e32 v12, 2
	v_mov_b32_e32 v13, 1
	global_store_dwordx4 v[8:9], v[10:13], off offset:8
.LBB8_231:
	s_or_b64 exec, exec, s[14:15]
	s_lshl_b64 s[10:11], s[12:13], 12
	v_mov_b32_e32 v3, s11
	v_add_co_u32_e32 v10, vcc, s10, v6
	v_addc_co_u32_e32 v11, vcc, v7, v3, vcc
	s_movk_i32 s10, 0xff1f
	s_mov_b32 s12, 0
	v_and_or_b32 v0, v0, s10, 32
	v_mov_b32_e32 v3, v2
	v_readfirstlane_b32 s10, v10
	v_readfirstlane_b32 s11, v11
	s_mov_b32 s13, s12
	v_add_co_u32_e32 v6, vcc, v10, v34
	s_mov_b32 s14, s12
	s_mov_b32 s15, s12
	s_nop 0
	global_store_dwordx4 v34, v[0:3], s[10:11]
	v_addc_co_u32_e32 v7, vcc, 0, v11, vcc
	v_pk_mov_b32 v[0:1], s[12:13], s[12:13] op_sel:[0,1]
	v_pk_mov_b32 v[2:3], s[14:15], s[14:15] op_sel:[0,1]
	global_store_dwordx4 v34, v[0:3], s[10:11] offset:16
	global_store_dwordx4 v34, v[0:3], s[10:11] offset:32
	global_store_dwordx4 v34, v[0:3], s[10:11] offset:48
	s_and_saveexec_b64 s[10:11], s[0:1]
	s_cbranch_execz .LBB8_239
; %bb.232:
	v_mov_b32_e32 v10, 0
	global_load_dwordx2 v[14:15], v10, s[2:3] offset:32 glc
	global_load_dwordx2 v[0:1], v10, s[2:3] offset:40
	v_mov_b32_e32 v12, s8
	v_mov_b32_e32 v13, s9
	s_waitcnt vmcnt(0)
	v_readfirstlane_b32 s12, v0
	v_readfirstlane_b32 s13, v1
	s_and_b64 s[12:13], s[12:13], s[8:9]
	s_mul_i32 s13, s13, 24
	s_mul_hi_u32 s14, s12, 24
	s_mul_i32 s12, s12, 24
	s_add_i32 s13, s14, s13
	v_mov_b32_e32 v0, s13
	v_add_co_u32_e32 v4, vcc, s12, v4
	v_addc_co_u32_e32 v5, vcc, v5, v0, vcc
	global_store_dwordx2 v[4:5], v[14:15], off
	buffer_wbl2
	s_waitcnt vmcnt(0)
	global_atomic_cmpswap_x2 v[2:3], v10, v[12:15], s[2:3] offset:32 glc
	s_waitcnt vmcnt(0)
	v_cmp_ne_u64_e32 vcc, v[2:3], v[14:15]
	s_and_saveexec_b64 s[12:13], vcc
	s_cbranch_execz .LBB8_235
; %bb.233:
	s_mov_b64 s[14:15], 0
.LBB8_234:                              ; =>This Inner Loop Header: Depth=1
	s_sleep 1
	global_store_dwordx2 v[4:5], v[2:3], off
	v_mov_b32_e32 v0, s8
	v_mov_b32_e32 v1, s9
	buffer_wbl2
	s_waitcnt vmcnt(0)
	global_atomic_cmpswap_x2 v[0:1], v10, v[0:3], s[2:3] offset:32 glc
	s_waitcnt vmcnt(0)
	v_cmp_eq_u64_e32 vcc, v[0:1], v[2:3]
	s_or_b64 s[14:15], vcc, s[14:15]
	v_pk_mov_b32 v[2:3], v[0:1], v[0:1] op_sel:[0,1]
	s_andn2_b64 exec, exec, s[14:15]
	s_cbranch_execnz .LBB8_234
.LBB8_235:
	s_or_b64 exec, exec, s[12:13]
	v_mov_b32_e32 v3, 0
	global_load_dwordx2 v[0:1], v3, s[2:3] offset:16
	s_mov_b64 s[12:13], exec
	v_mbcnt_lo_u32_b32 v2, s12, 0
	v_mbcnt_hi_u32_b32 v2, s13, v2
	v_cmp_eq_u32_e32 vcc, 0, v2
	s_and_saveexec_b64 s[14:15], vcc
	s_cbranch_execz .LBB8_237
; %bb.236:
	s_bcnt1_i32_b64 s12, s[12:13]
	v_mov_b32_e32 v2, s12
	buffer_wbl2
	s_waitcnt vmcnt(0)
	global_atomic_add_x2 v[0:1], v[2:3], off offset:8
.LBB8_237:
	s_or_b64 exec, exec, s[14:15]
	s_waitcnt vmcnt(0)
	global_load_dwordx2 v[2:3], v[0:1], off offset:16
	s_waitcnt vmcnt(0)
	v_cmp_eq_u64_e32 vcc, 0, v[2:3]
	s_cbranch_vccnz .LBB8_239
; %bb.238:
	global_load_dword v0, v[0:1], off offset:24
	v_mov_b32_e32 v1, 0
	buffer_wbl2
	s_waitcnt vmcnt(0)
	global_store_dwordx2 v[2:3], v[0:1], off
	v_and_b32_e32 v0, 0xffffff, v0
	v_readfirstlane_b32 m0, v0
	s_sendmsg sendmsg(MSG_INTERRUPT)
.LBB8_239:
	s_or_b64 exec, exec, s[10:11]
	s_branch .LBB8_243
.LBB8_240:                              ;   in Loop: Header=BB8_243 Depth=1
	s_or_b64 exec, exec, s[10:11]
	v_readfirstlane_b32 s10, v0
	s_cmp_eq_u32 s10, 0
	s_cbranch_scc1 .LBB8_242
; %bb.241:                              ;   in Loop: Header=BB8_243 Depth=1
	s_sleep 1
	s_cbranch_execnz .LBB8_243
	s_branch .LBB8_245
.LBB8_242:
	s_branch .LBB8_245
.LBB8_243:                              ; =>This Inner Loop Header: Depth=1
	v_mov_b32_e32 v0, 1
	s_and_saveexec_b64 s[10:11], s[0:1]
	s_cbranch_execz .LBB8_240
; %bb.244:                              ;   in Loop: Header=BB8_243 Depth=1
	global_load_dword v0, v[8:9], off offset:20 glc
	s_waitcnt vmcnt(0)
	buffer_invl2
	buffer_wbinvl1_vol
	v_and_b32_e32 v0, 1, v0
	s_branch .LBB8_240
.LBB8_245:
	global_load_dwordx2 v[2:3], v[6:7], off
	s_and_saveexec_b64 s[10:11], s[0:1]
	s_cbranch_execz .LBB8_248
; %bb.246:
	v_mov_b32_e32 v8, 0
	global_load_dwordx2 v[0:1], v8, s[2:3] offset:40
	global_load_dwordx2 v[10:11], v8, s[2:3] offset:24 glc
	global_load_dwordx2 v[12:13], v8, s[2:3]
	v_mov_b32_e32 v5, s9
	s_mov_b64 s[0:1], 0
	s_waitcnt vmcnt(2)
	v_add_co_u32_e32 v7, vcc, 1, v0
	v_addc_co_u32_e32 v9, vcc, 0, v1, vcc
	v_add_co_u32_e32 v4, vcc, s8, v7
	v_addc_co_u32_e32 v5, vcc, v9, v5, vcc
	v_cmp_eq_u64_e32 vcc, 0, v[4:5]
	v_cndmask_b32_e32 v5, v5, v9, vcc
	v_cndmask_b32_e32 v4, v4, v7, vcc
	v_and_b32_e32 v1, v5, v1
	v_and_b32_e32 v0, v4, v0
	v_mul_lo_u32 v1, v1, 24
	v_mul_hi_u32 v7, v0, 24
	v_mul_lo_u32 v0, v0, 24
	v_add_u32_e32 v1, v7, v1
	s_waitcnt vmcnt(0)
	v_add_co_u32_e32 v0, vcc, v12, v0
	v_addc_co_u32_e32 v1, vcc, v13, v1, vcc
	v_mov_b32_e32 v6, v10
	global_store_dwordx2 v[0:1], v[10:11], off
	v_mov_b32_e32 v7, v11
	buffer_wbl2
	s_waitcnt vmcnt(0)
	global_atomic_cmpswap_x2 v[6:7], v8, v[4:7], s[2:3] offset:24 glc
	s_waitcnt vmcnt(0)
	v_cmp_ne_u64_e32 vcc, v[6:7], v[10:11]
	s_and_b64 exec, exec, vcc
	s_cbranch_execz .LBB8_248
.LBB8_247:                              ; =>This Inner Loop Header: Depth=1
	s_sleep 1
	global_store_dwordx2 v[0:1], v[6:7], off
	buffer_wbl2
	s_waitcnt vmcnt(0)
	global_atomic_cmpswap_x2 v[10:11], v8, v[4:7], s[2:3] offset:24 glc
	s_waitcnt vmcnt(0)
	v_cmp_eq_u64_e32 vcc, v[10:11], v[6:7]
	s_or_b64 s[0:1], vcc, s[0:1]
	v_pk_mov_b32 v[6:7], v[10:11], v[10:11] op_sel:[0,1]
	s_andn2_b64 exec, exec, s[0:1]
	s_cbranch_execnz .LBB8_247
.LBB8_248:
	s_or_b64 exec, exec, s[10:11]
.LBB8_249:
	v_readfirstlane_b32 s0, v35
	v_cmp_eq_u32_e64 s[0:1], s0, v35
	s_waitcnt vmcnt(0)
	v_pk_mov_b32 v[0:1], 0, 0
	s_and_saveexec_b64 s[8:9], s[0:1]
	s_cbranch_execz .LBB8_255
; %bb.250:
	v_mov_b32_e32 v4, 0
	global_load_dwordx2 v[8:9], v4, s[2:3] offset:24 glc
	s_waitcnt vmcnt(0)
	buffer_invl2
	buffer_wbinvl1_vol
	global_load_dwordx2 v[0:1], v4, s[2:3] offset:40
	global_load_dwordx2 v[6:7], v4, s[2:3]
	s_waitcnt vmcnt(1)
	v_and_b32_e32 v0, v0, v8
	v_and_b32_e32 v1, v1, v9
	v_mul_lo_u32 v1, v1, 24
	v_mul_hi_u32 v5, v0, 24
	v_mul_lo_u32 v0, v0, 24
	v_add_u32_e32 v1, v5, v1
	s_waitcnt vmcnt(0)
	v_add_co_u32_e32 v0, vcc, v6, v0
	v_addc_co_u32_e32 v1, vcc, v7, v1, vcc
	global_load_dwordx2 v[6:7], v[0:1], off glc
	s_waitcnt vmcnt(0)
	global_atomic_cmpswap_x2 v[0:1], v4, v[6:9], s[2:3] offset:24 glc
	s_waitcnt vmcnt(0)
	buffer_invl2
	buffer_wbinvl1_vol
	v_cmp_ne_u64_e32 vcc, v[0:1], v[8:9]
	s_and_saveexec_b64 s[10:11], vcc
	s_cbranch_execz .LBB8_254
; %bb.251:
	s_mov_b64 s[12:13], 0
.LBB8_252:                              ; =>This Inner Loop Header: Depth=1
	s_sleep 1
	global_load_dwordx2 v[6:7], v4, s[2:3] offset:40
	global_load_dwordx2 v[10:11], v4, s[2:3]
	v_pk_mov_b32 v[8:9], v[0:1], v[0:1] op_sel:[0,1]
	s_waitcnt vmcnt(1)
	v_and_b32_e32 v0, v6, v8
	s_waitcnt vmcnt(0)
	v_mad_u64_u32 v[0:1], s[14:15], v0, 24, v[10:11]
	v_and_b32_e32 v5, v7, v9
	v_mov_b32_e32 v6, v1
	v_mad_u64_u32 v[6:7], s[14:15], v5, 24, v[6:7]
	v_mov_b32_e32 v1, v6
	global_load_dwordx2 v[6:7], v[0:1], off glc
	s_waitcnt vmcnt(0)
	global_atomic_cmpswap_x2 v[0:1], v4, v[6:9], s[2:3] offset:24 glc
	s_waitcnt vmcnt(0)
	buffer_invl2
	buffer_wbinvl1_vol
	v_cmp_eq_u64_e32 vcc, v[0:1], v[8:9]
	s_or_b64 s[12:13], vcc, s[12:13]
	s_andn2_b64 exec, exec, s[12:13]
	s_cbranch_execnz .LBB8_252
; %bb.253:
	s_or_b64 exec, exec, s[12:13]
.LBB8_254:
	s_or_b64 exec, exec, s[10:11]
.LBB8_255:
	s_or_b64 exec, exec, s[8:9]
	v_mov_b32_e32 v4, 0
	global_load_dwordx2 v[10:11], v4, s[2:3] offset:40
	global_load_dwordx4 v[6:9], v4, s[2:3]
	v_readfirstlane_b32 s8, v0
	v_readfirstlane_b32 s9, v1
	s_mov_b64 s[10:11], exec
	s_waitcnt vmcnt(1)
	v_readfirstlane_b32 s12, v10
	v_readfirstlane_b32 s13, v11
	s_and_b64 s[12:13], s[8:9], s[12:13]
	s_mul_i32 s14, s13, 24
	s_mul_hi_u32 s15, s12, 24
	s_mul_i32 s16, s12, 24
	s_add_i32 s14, s15, s14
	v_mov_b32_e32 v0, s14
	s_waitcnt vmcnt(0)
	v_add_co_u32_e32 v10, vcc, s16, v6
	v_addc_co_u32_e32 v11, vcc, v7, v0, vcc
	s_and_saveexec_b64 s[14:15], s[0:1]
	s_cbranch_execz .LBB8_257
; %bb.256:
	v_pk_mov_b32 v[12:13], s[10:11], s[10:11] op_sel:[0,1]
	v_mov_b32_e32 v14, 2
	v_mov_b32_e32 v15, 1
	global_store_dwordx4 v[10:11], v[12:15], off offset:8
.LBB8_257:
	s_or_b64 exec, exec, s[14:15]
	s_lshl_b64 s[10:11], s[12:13], 12
	v_mov_b32_e32 v1, s11
	v_add_co_u32_e32 v0, vcc, s10, v8
	v_addc_co_u32_e32 v1, vcc, v9, v1, vcc
	s_movk_i32 s10, 0xff1d
	s_mov_b32 s12, 0
	v_and_or_b32 v2, v2, s10, 34
	v_mov_b32_e32 v5, v4
	v_readfirstlane_b32 s10, v0
	v_readfirstlane_b32 s11, v1
	s_mov_b32 s13, s12
	s_mov_b32 s14, s12
	s_mov_b32 s15, s12
	s_nop 1
	global_store_dwordx4 v34, v[2:5], s[10:11]
	v_pk_mov_b32 v[0:1], s[12:13], s[12:13] op_sel:[0,1]
	v_pk_mov_b32 v[2:3], s[14:15], s[14:15] op_sel:[0,1]
	global_store_dwordx4 v34, v[0:3], s[10:11] offset:16
	global_store_dwordx4 v34, v[0:3], s[10:11] offset:32
	;; [unrolled: 1-line block ×3, first 2 shown]
	s_and_saveexec_b64 s[10:11], s[0:1]
	s_cbranch_execz .LBB8_265
; %bb.258:
	v_mov_b32_e32 v8, 0
	global_load_dwordx2 v[14:15], v8, s[2:3] offset:32 glc
	global_load_dwordx2 v[0:1], v8, s[2:3] offset:40
	v_mov_b32_e32 v12, s8
	v_mov_b32_e32 v13, s9
	s_waitcnt vmcnt(0)
	v_readfirstlane_b32 s12, v0
	v_readfirstlane_b32 s13, v1
	s_and_b64 s[12:13], s[12:13], s[8:9]
	s_mul_i32 s13, s13, 24
	s_mul_hi_u32 s14, s12, 24
	s_mul_i32 s12, s12, 24
	s_add_i32 s13, s14, s13
	v_mov_b32_e32 v0, s13
	v_add_co_u32_e32 v4, vcc, s12, v6
	v_addc_co_u32_e32 v5, vcc, v7, v0, vcc
	global_store_dwordx2 v[4:5], v[14:15], off
	buffer_wbl2
	s_waitcnt vmcnt(0)
	global_atomic_cmpswap_x2 v[2:3], v8, v[12:15], s[2:3] offset:32 glc
	s_waitcnt vmcnt(0)
	v_cmp_ne_u64_e32 vcc, v[2:3], v[14:15]
	s_and_saveexec_b64 s[12:13], vcc
	s_cbranch_execz .LBB8_261
; %bb.259:
	s_mov_b64 s[14:15], 0
.LBB8_260:                              ; =>This Inner Loop Header: Depth=1
	s_sleep 1
	global_store_dwordx2 v[4:5], v[2:3], off
	v_mov_b32_e32 v0, s8
	v_mov_b32_e32 v1, s9
	buffer_wbl2
	s_waitcnt vmcnt(0)
	global_atomic_cmpswap_x2 v[0:1], v8, v[0:3], s[2:3] offset:32 glc
	s_waitcnt vmcnt(0)
	v_cmp_eq_u64_e32 vcc, v[0:1], v[2:3]
	s_or_b64 s[14:15], vcc, s[14:15]
	v_pk_mov_b32 v[2:3], v[0:1], v[0:1] op_sel:[0,1]
	s_andn2_b64 exec, exec, s[14:15]
	s_cbranch_execnz .LBB8_260
.LBB8_261:
	s_or_b64 exec, exec, s[12:13]
	v_mov_b32_e32 v3, 0
	global_load_dwordx2 v[0:1], v3, s[2:3] offset:16
	s_mov_b64 s[12:13], exec
	v_mbcnt_lo_u32_b32 v2, s12, 0
	v_mbcnt_hi_u32_b32 v2, s13, v2
	v_cmp_eq_u32_e32 vcc, 0, v2
	s_and_saveexec_b64 s[14:15], vcc
	s_cbranch_execz .LBB8_263
; %bb.262:
	s_bcnt1_i32_b64 s12, s[12:13]
	v_mov_b32_e32 v2, s12
	buffer_wbl2
	s_waitcnt vmcnt(0)
	global_atomic_add_x2 v[0:1], v[2:3], off offset:8
.LBB8_263:
	s_or_b64 exec, exec, s[14:15]
	s_waitcnt vmcnt(0)
	global_load_dwordx2 v[2:3], v[0:1], off offset:16
	s_waitcnt vmcnt(0)
	v_cmp_eq_u64_e32 vcc, 0, v[2:3]
	s_cbranch_vccnz .LBB8_265
; %bb.264:
	global_load_dword v0, v[0:1], off offset:24
	v_mov_b32_e32 v1, 0
	buffer_wbl2
	s_waitcnt vmcnt(0)
	global_store_dwordx2 v[2:3], v[0:1], off
	v_and_b32_e32 v0, 0xffffff, v0
	v_readfirstlane_b32 m0, v0
	s_sendmsg sendmsg(MSG_INTERRUPT)
.LBB8_265:
	s_or_b64 exec, exec, s[10:11]
	s_branch .LBB8_269
.LBB8_266:                              ;   in Loop: Header=BB8_269 Depth=1
	s_or_b64 exec, exec, s[10:11]
	v_readfirstlane_b32 s10, v0
	s_cmp_eq_u32 s10, 0
	s_cbranch_scc1 .LBB8_268
; %bb.267:                              ;   in Loop: Header=BB8_269 Depth=1
	s_sleep 1
	s_cbranch_execnz .LBB8_269
	s_branch .LBB8_271
.LBB8_268:
	s_branch .LBB8_271
.LBB8_269:                              ; =>This Inner Loop Header: Depth=1
	v_mov_b32_e32 v0, 1
	s_and_saveexec_b64 s[10:11], s[0:1]
	s_cbranch_execz .LBB8_266
; %bb.270:                              ;   in Loop: Header=BB8_269 Depth=1
	global_load_dword v0, v[10:11], off offset:20 glc
	s_waitcnt vmcnt(0)
	buffer_invl2
	buffer_wbinvl1_vol
	v_and_b32_e32 v0, 1, v0
	s_branch .LBB8_266
.LBB8_271:
	s_and_saveexec_b64 s[10:11], s[0:1]
	s_cbranch_execz .LBB8_274
; %bb.272:
	v_mov_b32_e32 v6, 0
	global_load_dwordx2 v[4:5], v6, s[2:3] offset:40
	global_load_dwordx2 v[8:9], v6, s[2:3] offset:24 glc
	global_load_dwordx2 v[10:11], v6, s[2:3]
	v_mov_b32_e32 v1, s9
	s_mov_b64 s[0:1], 0
	s_waitcnt vmcnt(2)
	v_add_co_u32_e32 v3, vcc, 1, v4
	v_addc_co_u32_e32 v7, vcc, 0, v5, vcc
	v_add_co_u32_e32 v0, vcc, s8, v3
	v_addc_co_u32_e32 v1, vcc, v7, v1, vcc
	v_cmp_eq_u64_e32 vcc, 0, v[0:1]
	v_cndmask_b32_e32 v1, v1, v7, vcc
	v_cndmask_b32_e32 v0, v0, v3, vcc
	v_and_b32_e32 v3, v1, v5
	v_and_b32_e32 v4, v0, v4
	v_mul_lo_u32 v3, v3, 24
	v_mul_hi_u32 v5, v4, 24
	v_mul_lo_u32 v4, v4, 24
	v_add_u32_e32 v3, v5, v3
	s_waitcnt vmcnt(0)
	v_add_co_u32_e32 v4, vcc, v10, v4
	v_addc_co_u32_e32 v5, vcc, v11, v3, vcc
	v_mov_b32_e32 v2, v8
	global_store_dwordx2 v[4:5], v[8:9], off
	v_mov_b32_e32 v3, v9
	buffer_wbl2
	s_waitcnt vmcnt(0)
	global_atomic_cmpswap_x2 v[2:3], v6, v[0:3], s[2:3] offset:24 glc
	s_waitcnt vmcnt(0)
	v_cmp_ne_u64_e32 vcc, v[2:3], v[8:9]
	s_and_b64 exec, exec, vcc
	s_cbranch_execz .LBB8_274
.LBB8_273:                              ; =>This Inner Loop Header: Depth=1
	s_sleep 1
	global_store_dwordx2 v[4:5], v[2:3], off
	buffer_wbl2
	s_waitcnt vmcnt(0)
	global_atomic_cmpswap_x2 v[8:9], v6, v[0:3], s[2:3] offset:24 glc
	s_waitcnt vmcnt(0)
	v_cmp_eq_u64_e32 vcc, v[8:9], v[2:3]
	s_or_b64 s[0:1], vcc, s[0:1]
	v_pk_mov_b32 v[2:3], v[8:9], v[8:9] op_sel:[0,1]
	s_andn2_b64 exec, exec, s[0:1]
	s_cbranch_execnz .LBB8_273
.LBB8_274:
	s_or_b64 exec, exec, s[10:11]
	v_readfirstlane_b32 s0, v35
	v_cmp_eq_u32_e64 s[0:1], s0, v35
	v_pk_mov_b32 v[6:7], 0, 0
	s_waitcnt lgkmcnt(0)
	s_barrier
	s_and_saveexec_b64 s[8:9], s[0:1]
	s_cbranch_execz .LBB8_280
; %bb.275:
	v_mov_b32_e32 v0, 0
	global_load_dwordx2 v[4:5], v0, s[2:3] offset:24 glc
	s_waitcnt vmcnt(0)
	buffer_invl2
	buffer_wbinvl1_vol
	global_load_dwordx2 v[2:3], v0, s[2:3] offset:40
	global_load_dwordx2 v[6:7], v0, s[2:3]
	s_waitcnt vmcnt(1)
	v_and_b32_e32 v1, v2, v4
	v_and_b32_e32 v2, v3, v5
	v_mul_lo_u32 v2, v2, 24
	v_mul_hi_u32 v3, v1, 24
	v_mul_lo_u32 v1, v1, 24
	v_add_u32_e32 v3, v3, v2
	s_waitcnt vmcnt(0)
	v_add_co_u32_e32 v2, vcc, v6, v1
	v_addc_co_u32_e32 v3, vcc, v7, v3, vcc
	global_load_dwordx2 v[2:3], v[2:3], off glc
	s_waitcnt vmcnt(0)
	global_atomic_cmpswap_x2 v[6:7], v0, v[2:5], s[2:3] offset:24 glc
	s_waitcnt vmcnt(0)
	buffer_invl2
	buffer_wbinvl1_vol
	v_cmp_ne_u64_e32 vcc, v[6:7], v[4:5]
	s_and_saveexec_b64 s[10:11], vcc
	s_cbranch_execz .LBB8_279
; %bb.276:
	s_mov_b64 s[12:13], 0
.LBB8_277:                              ; =>This Inner Loop Header: Depth=1
	s_sleep 1
	global_load_dwordx2 v[2:3], v0, s[2:3] offset:40
	global_load_dwordx2 v[8:9], v0, s[2:3]
	v_pk_mov_b32 v[4:5], v[6:7], v[6:7] op_sel:[0,1]
	s_waitcnt vmcnt(1)
	v_and_b32_e32 v2, v2, v4
	v_and_b32_e32 v1, v3, v5
	s_waitcnt vmcnt(0)
	v_mad_u64_u32 v[2:3], s[14:15], v2, 24, v[8:9]
	v_mov_b32_e32 v6, v3
	v_mad_u64_u32 v[6:7], s[14:15], v1, 24, v[6:7]
	v_mov_b32_e32 v3, v6
	global_load_dwordx2 v[2:3], v[2:3], off glc
	s_waitcnt vmcnt(0)
	global_atomic_cmpswap_x2 v[6:7], v0, v[2:5], s[2:3] offset:24 glc
	s_waitcnt vmcnt(0)
	buffer_invl2
	buffer_wbinvl1_vol
	v_cmp_eq_u64_e32 vcc, v[6:7], v[4:5]
	s_or_b64 s[12:13], vcc, s[12:13]
	s_andn2_b64 exec, exec, s[12:13]
	s_cbranch_execnz .LBB8_277
; %bb.278:
	s_or_b64 exec, exec, s[12:13]
.LBB8_279:
	s_or_b64 exec, exec, s[10:11]
.LBB8_280:
	s_or_b64 exec, exec, s[8:9]
	v_mov_b32_e32 v5, 0
	global_load_dwordx2 v[8:9], v5, s[2:3] offset:40
	global_load_dwordx4 v[0:3], v5, s[2:3]
	v_readfirstlane_b32 s8, v6
	v_readfirstlane_b32 s9, v7
	s_mov_b64 s[10:11], exec
	s_waitcnt vmcnt(1)
	v_readfirstlane_b32 s12, v8
	v_readfirstlane_b32 s13, v9
	s_and_b64 s[12:13], s[8:9], s[12:13]
	s_mul_i32 s14, s13, 24
	s_mul_hi_u32 s15, s12, 24
	s_mul_i32 s16, s12, 24
	s_add_i32 s14, s15, s14
	v_mov_b32_e32 v4, s14
	s_waitcnt vmcnt(0)
	v_add_co_u32_e32 v8, vcc, s16, v0
	v_addc_co_u32_e32 v9, vcc, v1, v4, vcc
	s_and_saveexec_b64 s[14:15], s[0:1]
	s_cbranch_execz .LBB8_282
; %bb.281:
	v_pk_mov_b32 v[10:11], s[10:11], s[10:11] op_sel:[0,1]
	v_mov_b32_e32 v12, 2
	v_mov_b32_e32 v13, 1
	global_store_dwordx4 v[8:9], v[10:13], off offset:8
.LBB8_282:
	s_or_b64 exec, exec, s[14:15]
	s_lshl_b64 s[10:11], s[12:13], 12
	v_mov_b32_e32 v4, s11
	v_add_co_u32_e32 v2, vcc, s10, v2
	v_addc_co_u32_e32 v3, vcc, v3, v4, vcc
	s_mov_b32 s12, 0
	v_add_co_u32_e32 v10, vcc, v2, v34
	v_mov_b32_e32 v4, 33
	v_mov_b32_e32 v6, v5
	;; [unrolled: 1-line block ×3, first 2 shown]
	v_readfirstlane_b32 s10, v2
	v_readfirstlane_b32 s11, v3
	s_mov_b32 s13, s12
	v_addc_co_u32_e32 v11, vcc, 0, v3, vcc
	s_mov_b32 s14, s12
	s_mov_b32 s15, s12
	s_nop 0
	global_store_dwordx4 v34, v[4:7], s[10:11]
	v_pk_mov_b32 v[2:3], s[12:13], s[12:13] op_sel:[0,1]
	v_pk_mov_b32 v[4:5], s[14:15], s[14:15] op_sel:[0,1]
	global_store_dwordx4 v34, v[2:5], s[10:11] offset:16
	global_store_dwordx4 v34, v[2:5], s[10:11] offset:32
	;; [unrolled: 1-line block ×3, first 2 shown]
	s_and_saveexec_b64 s[10:11], s[0:1]
	s_cbranch_execz .LBB8_290
; %bb.283:
	v_mov_b32_e32 v6, 0
	global_load_dwordx2 v[14:15], v6, s[2:3] offset:32 glc
	global_load_dwordx2 v[2:3], v6, s[2:3] offset:40
	v_mov_b32_e32 v12, s8
	v_mov_b32_e32 v13, s9
	s_waitcnt vmcnt(0)
	v_readfirstlane_b32 s12, v2
	v_readfirstlane_b32 s13, v3
	s_and_b64 s[12:13], s[12:13], s[8:9]
	s_mul_i32 s13, s13, 24
	s_mul_hi_u32 s14, s12, 24
	s_mul_i32 s12, s12, 24
	s_add_i32 s13, s14, s13
	v_mov_b32_e32 v2, s13
	v_add_co_u32_e32 v4, vcc, s12, v0
	v_addc_co_u32_e32 v5, vcc, v1, v2, vcc
	global_store_dwordx2 v[4:5], v[14:15], off
	buffer_wbl2
	s_waitcnt vmcnt(0)
	global_atomic_cmpswap_x2 v[2:3], v6, v[12:15], s[2:3] offset:32 glc
	s_waitcnt vmcnt(0)
	v_cmp_ne_u64_e32 vcc, v[2:3], v[14:15]
	s_and_saveexec_b64 s[12:13], vcc
	s_cbranch_execz .LBB8_286
; %bb.284:
	s_mov_b64 s[14:15], 0
.LBB8_285:                              ; =>This Inner Loop Header: Depth=1
	s_sleep 1
	global_store_dwordx2 v[4:5], v[2:3], off
	v_mov_b32_e32 v0, s8
	v_mov_b32_e32 v1, s9
	buffer_wbl2
	s_waitcnt vmcnt(0)
	global_atomic_cmpswap_x2 v[0:1], v6, v[0:3], s[2:3] offset:32 glc
	s_waitcnt vmcnt(0)
	v_cmp_eq_u64_e32 vcc, v[0:1], v[2:3]
	s_or_b64 s[14:15], vcc, s[14:15]
	v_pk_mov_b32 v[2:3], v[0:1], v[0:1] op_sel:[0,1]
	s_andn2_b64 exec, exec, s[14:15]
	s_cbranch_execnz .LBB8_285
.LBB8_286:
	s_or_b64 exec, exec, s[12:13]
	v_mov_b32_e32 v3, 0
	global_load_dwordx2 v[0:1], v3, s[2:3] offset:16
	s_mov_b64 s[12:13], exec
	v_mbcnt_lo_u32_b32 v2, s12, 0
	v_mbcnt_hi_u32_b32 v2, s13, v2
	v_cmp_eq_u32_e32 vcc, 0, v2
	s_and_saveexec_b64 s[14:15], vcc
	s_cbranch_execz .LBB8_288
; %bb.287:
	s_bcnt1_i32_b64 s12, s[12:13]
	v_mov_b32_e32 v2, s12
	buffer_wbl2
	s_waitcnt vmcnt(0)
	global_atomic_add_x2 v[0:1], v[2:3], off offset:8
.LBB8_288:
	s_or_b64 exec, exec, s[14:15]
	s_waitcnt vmcnt(0)
	global_load_dwordx2 v[2:3], v[0:1], off offset:16
	s_waitcnt vmcnt(0)
	v_cmp_eq_u64_e32 vcc, 0, v[2:3]
	s_cbranch_vccnz .LBB8_290
; %bb.289:
	global_load_dword v0, v[0:1], off offset:24
	v_mov_b32_e32 v1, 0
	buffer_wbl2
	s_waitcnt vmcnt(0)
	global_store_dwordx2 v[2:3], v[0:1], off
	v_and_b32_e32 v0, 0xffffff, v0
	v_readfirstlane_b32 m0, v0
	s_sendmsg sendmsg(MSG_INTERRUPT)
.LBB8_290:
	s_or_b64 exec, exec, s[10:11]
	s_branch .LBB8_294
.LBB8_291:                              ;   in Loop: Header=BB8_294 Depth=1
	s_or_b64 exec, exec, s[10:11]
	v_readfirstlane_b32 s10, v0
	s_cmp_eq_u32 s10, 0
	s_cbranch_scc1 .LBB8_293
; %bb.292:                              ;   in Loop: Header=BB8_294 Depth=1
	s_sleep 1
	s_cbranch_execnz .LBB8_294
	s_branch .LBB8_296
.LBB8_293:
	s_branch .LBB8_296
.LBB8_294:                              ; =>This Inner Loop Header: Depth=1
	v_mov_b32_e32 v0, 1
	s_and_saveexec_b64 s[10:11], s[0:1]
	s_cbranch_execz .LBB8_291
; %bb.295:                              ;   in Loop: Header=BB8_294 Depth=1
	global_load_dword v0, v[8:9], off offset:20 glc
	s_waitcnt vmcnt(0)
	buffer_invl2
	buffer_wbinvl1_vol
	v_and_b32_e32 v0, 1, v0
	s_branch .LBB8_291
.LBB8_296:
	global_load_dwordx2 v[4:5], v[10:11], off
	s_and_saveexec_b64 s[10:11], s[0:1]
	s_cbranch_execz .LBB8_299
; %bb.297:
	v_mov_b32_e32 v8, 0
	global_load_dwordx2 v[6:7], v8, s[2:3] offset:40
	global_load_dwordx2 v[10:11], v8, s[2:3] offset:24 glc
	global_load_dwordx2 v[12:13], v8, s[2:3]
	v_mov_b32_e32 v1, s9
	s_mov_b64 s[0:1], 0
	s_waitcnt vmcnt(2)
	v_add_co_u32_e32 v3, vcc, 1, v6
	v_addc_co_u32_e32 v9, vcc, 0, v7, vcc
	v_add_co_u32_e32 v0, vcc, s8, v3
	v_addc_co_u32_e32 v1, vcc, v9, v1, vcc
	v_cmp_eq_u64_e32 vcc, 0, v[0:1]
	v_cndmask_b32_e32 v1, v1, v9, vcc
	v_cndmask_b32_e32 v0, v0, v3, vcc
	v_and_b32_e32 v3, v1, v7
	v_and_b32_e32 v6, v0, v6
	v_mul_lo_u32 v3, v3, 24
	v_mul_hi_u32 v7, v6, 24
	v_mul_lo_u32 v6, v6, 24
	v_add_u32_e32 v3, v7, v3
	s_waitcnt vmcnt(0)
	v_add_co_u32_e32 v6, vcc, v12, v6
	v_addc_co_u32_e32 v7, vcc, v13, v3, vcc
	v_mov_b32_e32 v2, v10
	global_store_dwordx2 v[6:7], v[10:11], off
	v_mov_b32_e32 v3, v11
	buffer_wbl2
	s_waitcnt vmcnt(0)
	global_atomic_cmpswap_x2 v[2:3], v8, v[0:3], s[2:3] offset:24 glc
	s_waitcnt vmcnt(0)
	v_cmp_ne_u64_e32 vcc, v[2:3], v[10:11]
	s_and_b64 exec, exec, vcc
	s_cbranch_execz .LBB8_299
.LBB8_298:                              ; =>This Inner Loop Header: Depth=1
	s_sleep 1
	global_store_dwordx2 v[6:7], v[2:3], off
	buffer_wbl2
	s_waitcnt vmcnt(0)
	global_atomic_cmpswap_x2 v[10:11], v8, v[0:3], s[2:3] offset:24 glc
	s_waitcnt vmcnt(0)
	v_cmp_eq_u64_e32 vcc, v[10:11], v[2:3]
	s_or_b64 s[0:1], vcc, s[0:1]
	v_pk_mov_b32 v[2:3], v[10:11], v[10:11] op_sel:[0,1]
	s_andn2_b64 exec, exec, s[0:1]
	s_cbranch_execnz .LBB8_298
.LBB8_299:
	s_or_b64 exec, exec, s[10:11]
	s_and_b64 vcc, exec, s[4:5]
	s_cbranch_vccz .LBB8_469
; %bb.300:
	s_waitcnt vmcnt(0)
	v_and_b32_e32 v26, 2, v4
	v_mov_b32_e32 v29, 0
	v_and_b32_e32 v0, -3, v4
	v_mov_b32_e32 v1, v5
	s_mov_b64 s[10:11], 6
	v_mov_b32_e32 v8, 2
	v_mov_b32_e32 v9, 1
	s_getpc_b64 s[8:9]
	s_add_u32 s8, s8, .str.7@rel32@lo+4
	s_addc_u32 s9, s9, .str.7@rel32@hi+12
	s_branch .LBB8_302
.LBB8_301:                              ;   in Loop: Header=BB8_302 Depth=1
	s_or_b64 exec, exec, s[16:17]
	s_sub_u32 s10, s10, s12
	s_subb_u32 s11, s11, s13
	s_add_u32 s8, s8, s12
	s_addc_u32 s9, s9, s13
	s_cmp_lg_u64 s[10:11], 0
	s_cbranch_scc0 .LBB8_383
.LBB8_302:                              ; =>This Loop Header: Depth=1
                                        ;     Child Loop BB8_305 Depth 2
                                        ;     Child Loop BB8_312 Depth 2
	;; [unrolled: 1-line block ×11, first 2 shown]
	v_cmp_lt_u64_e64 s[0:1], s[10:11], 56
	s_and_b64 s[0:1], s[0:1], exec
	v_cmp_gt_u64_e64 s[0:1], s[10:11], 7
	s_cselect_b32 s13, s11, 0
	s_cselect_b32 s12, s10, 56
	s_and_b64 vcc, exec, s[0:1]
	s_cbranch_vccnz .LBB8_307
; %bb.303:                              ;   in Loop: Header=BB8_302 Depth=1
	s_mov_b64 s[0:1], 0
	s_cmp_eq_u64 s[10:11], 0
	s_waitcnt vmcnt(0)
	v_pk_mov_b32 v[2:3], 0, 0
	s_cbranch_scc1 .LBB8_306
; %bb.304:                              ;   in Loop: Header=BB8_302 Depth=1
	s_lshl_b64 s[14:15], s[12:13], 3
	s_mov_b64 s[16:17], 0
	v_pk_mov_b32 v[2:3], 0, 0
	s_mov_b64 s[18:19], s[8:9]
.LBB8_305:                              ;   Parent Loop BB8_302 Depth=1
                                        ; =>  This Inner Loop Header: Depth=2
	global_load_ubyte v6, v29, s[18:19]
	s_waitcnt vmcnt(0)
	v_and_b32_e32 v28, 0xffff, v6
	v_lshlrev_b64 v[6:7], s16, v[28:29]
	s_add_u32 s16, s16, 8
	s_addc_u32 s17, s17, 0
	s_add_u32 s18, s18, 1
	s_addc_u32 s19, s19, 0
	v_or_b32_e32 v2, v6, v2
	s_cmp_lg_u32 s14, s16
	v_or_b32_e32 v3, v7, v3
	s_cbranch_scc1 .LBB8_305
.LBB8_306:                              ;   in Loop: Header=BB8_302 Depth=1
	s_mov_b32 s18, 0
	s_andn2_b64 vcc, exec, s[0:1]
	s_mov_b64 s[0:1], s[8:9]
	s_cbranch_vccz .LBB8_308
	s_branch .LBB8_309
.LBB8_307:                              ;   in Loop: Header=BB8_302 Depth=1
                                        ; implicit-def: $vgpr2_vgpr3
                                        ; implicit-def: $sgpr18
	s_mov_b64 s[0:1], s[8:9]
.LBB8_308:                              ;   in Loop: Header=BB8_302 Depth=1
	global_load_dwordx2 v[2:3], v29, s[8:9]
	s_add_i32 s18, s12, -8
	s_add_u32 s0, s8, 8
	s_addc_u32 s1, s9, 0
.LBB8_309:                              ;   in Loop: Header=BB8_302 Depth=1
	s_cmp_gt_u32 s18, 7
	s_cbranch_scc1 .LBB8_313
; %bb.310:                              ;   in Loop: Header=BB8_302 Depth=1
	s_cmp_eq_u32 s18, 0
	s_cbranch_scc1 .LBB8_314
; %bb.311:                              ;   in Loop: Header=BB8_302 Depth=1
	s_mov_b64 s[14:15], 0
	v_pk_mov_b32 v[10:11], 0, 0
	s_mov_b64 s[16:17], 0
.LBB8_312:                              ;   Parent Loop BB8_302 Depth=1
                                        ; =>  This Inner Loop Header: Depth=2
	s_add_u32 s20, s0, s16
	s_addc_u32 s21, s1, s17
	global_load_ubyte v6, v29, s[20:21]
	s_add_u32 s16, s16, 1
	s_addc_u32 s17, s17, 0
	s_waitcnt vmcnt(0)
	v_and_b32_e32 v28, 0xffff, v6
	v_lshlrev_b64 v[6:7], s14, v[28:29]
	s_add_u32 s14, s14, 8
	s_addc_u32 s15, s15, 0
	v_or_b32_e32 v10, v6, v10
	s_cmp_lg_u32 s18, s16
	v_or_b32_e32 v11, v7, v11
	s_cbranch_scc1 .LBB8_312
	s_branch .LBB8_315
.LBB8_313:                              ;   in Loop: Header=BB8_302 Depth=1
                                        ; implicit-def: $vgpr10_vgpr11
                                        ; implicit-def: $sgpr19
	s_branch .LBB8_316
.LBB8_314:                              ;   in Loop: Header=BB8_302 Depth=1
	v_pk_mov_b32 v[10:11], 0, 0
.LBB8_315:                              ;   in Loop: Header=BB8_302 Depth=1
	s_mov_b32 s19, 0
	s_cbranch_execnz .LBB8_317
.LBB8_316:                              ;   in Loop: Header=BB8_302 Depth=1
	global_load_dwordx2 v[10:11], v29, s[0:1]
	s_add_i32 s19, s18, -8
	s_add_u32 s0, s0, 8
	s_addc_u32 s1, s1, 0
.LBB8_317:                              ;   in Loop: Header=BB8_302 Depth=1
	s_cmp_gt_u32 s19, 7
	s_cbranch_scc1 .LBB8_321
; %bb.318:                              ;   in Loop: Header=BB8_302 Depth=1
	s_cmp_eq_u32 s19, 0
	s_cbranch_scc1 .LBB8_322
; %bb.319:                              ;   in Loop: Header=BB8_302 Depth=1
	s_mov_b64 s[14:15], 0
	v_pk_mov_b32 v[12:13], 0, 0
	s_mov_b64 s[16:17], 0
.LBB8_320:                              ;   Parent Loop BB8_302 Depth=1
                                        ; =>  This Inner Loop Header: Depth=2
	s_add_u32 s20, s0, s16
	s_addc_u32 s21, s1, s17
	global_load_ubyte v6, v29, s[20:21]
	s_add_u32 s16, s16, 1
	s_addc_u32 s17, s17, 0
	s_waitcnt vmcnt(0)
	v_and_b32_e32 v28, 0xffff, v6
	v_lshlrev_b64 v[6:7], s14, v[28:29]
	s_add_u32 s14, s14, 8
	s_addc_u32 s15, s15, 0
	v_or_b32_e32 v12, v6, v12
	s_cmp_lg_u32 s19, s16
	v_or_b32_e32 v13, v7, v13
	s_cbranch_scc1 .LBB8_320
	s_branch .LBB8_323
.LBB8_321:                              ;   in Loop: Header=BB8_302 Depth=1
                                        ; implicit-def: $sgpr18
	s_branch .LBB8_324
.LBB8_322:                              ;   in Loop: Header=BB8_302 Depth=1
	v_pk_mov_b32 v[12:13], 0, 0
.LBB8_323:                              ;   in Loop: Header=BB8_302 Depth=1
	s_mov_b32 s18, 0
	s_cbranch_execnz .LBB8_325
.LBB8_324:                              ;   in Loop: Header=BB8_302 Depth=1
	global_load_dwordx2 v[12:13], v29, s[0:1]
	s_add_i32 s18, s19, -8
	s_add_u32 s0, s0, 8
	s_addc_u32 s1, s1, 0
.LBB8_325:                              ;   in Loop: Header=BB8_302 Depth=1
	s_cmp_gt_u32 s18, 7
	s_cbranch_scc1 .LBB8_329
; %bb.326:                              ;   in Loop: Header=BB8_302 Depth=1
	s_cmp_eq_u32 s18, 0
	s_cbranch_scc1 .LBB8_330
; %bb.327:                              ;   in Loop: Header=BB8_302 Depth=1
	s_mov_b64 s[14:15], 0
	v_pk_mov_b32 v[14:15], 0, 0
	s_mov_b64 s[16:17], 0
.LBB8_328:                              ;   Parent Loop BB8_302 Depth=1
                                        ; =>  This Inner Loop Header: Depth=2
	s_add_u32 s20, s0, s16
	s_addc_u32 s21, s1, s17
	global_load_ubyte v6, v29, s[20:21]
	s_add_u32 s16, s16, 1
	s_addc_u32 s17, s17, 0
	s_waitcnt vmcnt(0)
	v_and_b32_e32 v28, 0xffff, v6
	v_lshlrev_b64 v[6:7], s14, v[28:29]
	s_add_u32 s14, s14, 8
	s_addc_u32 s15, s15, 0
	v_or_b32_e32 v14, v6, v14
	s_cmp_lg_u32 s18, s16
	v_or_b32_e32 v15, v7, v15
	s_cbranch_scc1 .LBB8_328
	s_branch .LBB8_331
.LBB8_329:                              ;   in Loop: Header=BB8_302 Depth=1
                                        ; implicit-def: $vgpr14_vgpr15
                                        ; implicit-def: $sgpr19
	s_branch .LBB8_332
.LBB8_330:                              ;   in Loop: Header=BB8_302 Depth=1
	v_pk_mov_b32 v[14:15], 0, 0
.LBB8_331:                              ;   in Loop: Header=BB8_302 Depth=1
	s_mov_b32 s19, 0
	s_cbranch_execnz .LBB8_333
.LBB8_332:                              ;   in Loop: Header=BB8_302 Depth=1
	global_load_dwordx2 v[14:15], v29, s[0:1]
	s_add_i32 s19, s18, -8
	s_add_u32 s0, s0, 8
	s_addc_u32 s1, s1, 0
.LBB8_333:                              ;   in Loop: Header=BB8_302 Depth=1
	s_cmp_gt_u32 s19, 7
	s_cbranch_scc1 .LBB8_337
; %bb.334:                              ;   in Loop: Header=BB8_302 Depth=1
	s_cmp_eq_u32 s19, 0
	s_cbranch_scc1 .LBB8_338
; %bb.335:                              ;   in Loop: Header=BB8_302 Depth=1
	s_mov_b64 s[14:15], 0
	v_pk_mov_b32 v[16:17], 0, 0
	s_mov_b64 s[16:17], 0
.LBB8_336:                              ;   Parent Loop BB8_302 Depth=1
                                        ; =>  This Inner Loop Header: Depth=2
	s_add_u32 s20, s0, s16
	s_addc_u32 s21, s1, s17
	global_load_ubyte v6, v29, s[20:21]
	s_add_u32 s16, s16, 1
	s_addc_u32 s17, s17, 0
	s_waitcnt vmcnt(0)
	v_and_b32_e32 v28, 0xffff, v6
	v_lshlrev_b64 v[6:7], s14, v[28:29]
	s_add_u32 s14, s14, 8
	s_addc_u32 s15, s15, 0
	v_or_b32_e32 v16, v6, v16
	s_cmp_lg_u32 s19, s16
	v_or_b32_e32 v17, v7, v17
	s_cbranch_scc1 .LBB8_336
	s_branch .LBB8_339
.LBB8_337:                              ;   in Loop: Header=BB8_302 Depth=1
                                        ; implicit-def: $sgpr18
	s_branch .LBB8_340
.LBB8_338:                              ;   in Loop: Header=BB8_302 Depth=1
	v_pk_mov_b32 v[16:17], 0, 0
.LBB8_339:                              ;   in Loop: Header=BB8_302 Depth=1
	s_mov_b32 s18, 0
	s_cbranch_execnz .LBB8_341
.LBB8_340:                              ;   in Loop: Header=BB8_302 Depth=1
	global_load_dwordx2 v[16:17], v29, s[0:1]
	s_add_i32 s18, s19, -8
	s_add_u32 s0, s0, 8
	s_addc_u32 s1, s1, 0
.LBB8_341:                              ;   in Loop: Header=BB8_302 Depth=1
	s_cmp_gt_u32 s18, 7
	s_cbranch_scc1 .LBB8_345
; %bb.342:                              ;   in Loop: Header=BB8_302 Depth=1
	s_cmp_eq_u32 s18, 0
	s_cbranch_scc1 .LBB8_346
; %bb.343:                              ;   in Loop: Header=BB8_302 Depth=1
	s_mov_b64 s[14:15], 0
	v_pk_mov_b32 v[18:19], 0, 0
	s_mov_b64 s[16:17], 0
.LBB8_344:                              ;   Parent Loop BB8_302 Depth=1
                                        ; =>  This Inner Loop Header: Depth=2
	s_add_u32 s20, s0, s16
	s_addc_u32 s21, s1, s17
	global_load_ubyte v6, v29, s[20:21]
	s_add_u32 s16, s16, 1
	s_addc_u32 s17, s17, 0
	s_waitcnt vmcnt(0)
	v_and_b32_e32 v28, 0xffff, v6
	v_lshlrev_b64 v[6:7], s14, v[28:29]
	s_add_u32 s14, s14, 8
	s_addc_u32 s15, s15, 0
	v_or_b32_e32 v18, v6, v18
	s_cmp_lg_u32 s18, s16
	v_or_b32_e32 v19, v7, v19
	s_cbranch_scc1 .LBB8_344
	s_branch .LBB8_347
.LBB8_345:                              ;   in Loop: Header=BB8_302 Depth=1
                                        ; implicit-def: $vgpr18_vgpr19
                                        ; implicit-def: $sgpr19
	s_branch .LBB8_348
.LBB8_346:                              ;   in Loop: Header=BB8_302 Depth=1
	v_pk_mov_b32 v[18:19], 0, 0
.LBB8_347:                              ;   in Loop: Header=BB8_302 Depth=1
	s_mov_b32 s19, 0
	s_cbranch_execnz .LBB8_349
.LBB8_348:                              ;   in Loop: Header=BB8_302 Depth=1
	global_load_dwordx2 v[18:19], v29, s[0:1]
	s_add_i32 s19, s18, -8
	s_add_u32 s0, s0, 8
	s_addc_u32 s1, s1, 0
.LBB8_349:                              ;   in Loop: Header=BB8_302 Depth=1
	s_cmp_gt_u32 s19, 7
	s_cbranch_scc1 .LBB8_353
; %bb.350:                              ;   in Loop: Header=BB8_302 Depth=1
	s_cmp_eq_u32 s19, 0
	s_cbranch_scc1 .LBB8_354
; %bb.351:                              ;   in Loop: Header=BB8_302 Depth=1
	s_mov_b64 s[14:15], 0
	v_pk_mov_b32 v[20:21], 0, 0
	s_mov_b64 s[16:17], s[0:1]
.LBB8_352:                              ;   Parent Loop BB8_302 Depth=1
                                        ; =>  This Inner Loop Header: Depth=2
	global_load_ubyte v6, v29, s[16:17]
	s_add_i32 s19, s19, -1
	s_waitcnt vmcnt(0)
	v_and_b32_e32 v28, 0xffff, v6
	v_lshlrev_b64 v[6:7], s14, v[28:29]
	s_add_u32 s14, s14, 8
	s_addc_u32 s15, s15, 0
	s_add_u32 s16, s16, 1
	s_addc_u32 s17, s17, 0
	v_or_b32_e32 v20, v6, v20
	s_cmp_lg_u32 s19, 0
	v_or_b32_e32 v21, v7, v21
	s_cbranch_scc1 .LBB8_352
	s_branch .LBB8_355
.LBB8_353:                              ;   in Loop: Header=BB8_302 Depth=1
	s_branch .LBB8_356
.LBB8_354:                              ;   in Loop: Header=BB8_302 Depth=1
	v_pk_mov_b32 v[20:21], 0, 0
.LBB8_355:                              ;   in Loop: Header=BB8_302 Depth=1
	s_cbranch_execnz .LBB8_357
.LBB8_356:                              ;   in Loop: Header=BB8_302 Depth=1
	global_load_dwordx2 v[20:21], v29, s[0:1]
.LBB8_357:                              ;   in Loop: Header=BB8_302 Depth=1
	v_readfirstlane_b32 s0, v35
	v_cmp_eq_u32_e64 s[0:1], s0, v35
	v_pk_mov_b32 v[6:7], 0, 0
	s_and_saveexec_b64 s[14:15], s[0:1]
	s_cbranch_execz .LBB8_363
; %bb.358:                              ;   in Loop: Header=BB8_302 Depth=1
	global_load_dwordx2 v[24:25], v29, s[2:3] offset:24 glc
	s_waitcnt vmcnt(0)
	buffer_invl2
	buffer_wbinvl1_vol
	global_load_dwordx2 v[6:7], v29, s[2:3] offset:40
	global_load_dwordx2 v[22:23], v29, s[2:3]
	s_waitcnt vmcnt(1)
	v_and_b32_e32 v6, v6, v24
	v_and_b32_e32 v7, v7, v25
	v_mul_lo_u32 v7, v7, 24
	v_mul_hi_u32 v27, v6, 24
	v_mul_lo_u32 v6, v6, 24
	v_add_u32_e32 v7, v27, v7
	s_waitcnt vmcnt(0)
	v_add_co_u32_e32 v6, vcc, v22, v6
	v_addc_co_u32_e32 v7, vcc, v23, v7, vcc
	global_load_dwordx2 v[22:23], v[6:7], off glc
	s_waitcnt vmcnt(0)
	global_atomic_cmpswap_x2 v[6:7], v29, v[22:25], s[2:3] offset:24 glc
	s_waitcnt vmcnt(0)
	buffer_invl2
	buffer_wbinvl1_vol
	v_cmp_ne_u64_e32 vcc, v[6:7], v[24:25]
	s_and_saveexec_b64 s[16:17], vcc
	s_cbranch_execz .LBB8_362
; %bb.359:                              ;   in Loop: Header=BB8_302 Depth=1
	s_mov_b64 s[18:19], 0
.LBB8_360:                              ;   Parent Loop BB8_302 Depth=1
                                        ; =>  This Inner Loop Header: Depth=2
	s_sleep 1
	global_load_dwordx2 v[22:23], v29, s[2:3] offset:40
	global_load_dwordx2 v[30:31], v29, s[2:3]
	v_pk_mov_b32 v[24:25], v[6:7], v[6:7] op_sel:[0,1]
	s_waitcnt vmcnt(1)
	v_and_b32_e32 v6, v22, v24
	s_waitcnt vmcnt(0)
	v_mad_u64_u32 v[6:7], s[20:21], v6, 24, v[30:31]
	v_and_b32_e32 v23, v23, v25
	v_mov_b32_e32 v22, v7
	v_mad_u64_u32 v[22:23], s[20:21], v23, 24, v[22:23]
	v_mov_b32_e32 v7, v22
	global_load_dwordx2 v[22:23], v[6:7], off glc
	s_waitcnt vmcnt(0)
	global_atomic_cmpswap_x2 v[6:7], v29, v[22:25], s[2:3] offset:24 glc
	s_waitcnt vmcnt(0)
	buffer_invl2
	buffer_wbinvl1_vol
	v_cmp_eq_u64_e32 vcc, v[6:7], v[24:25]
	s_or_b64 s[18:19], vcc, s[18:19]
	s_andn2_b64 exec, exec, s[18:19]
	s_cbranch_execnz .LBB8_360
; %bb.361:                              ;   in Loop: Header=BB8_302 Depth=1
	s_or_b64 exec, exec, s[18:19]
.LBB8_362:                              ;   in Loop: Header=BB8_302 Depth=1
	s_or_b64 exec, exec, s[16:17]
.LBB8_363:                              ;   in Loop: Header=BB8_302 Depth=1
	s_or_b64 exec, exec, s[14:15]
	global_load_dwordx2 v[30:31], v29, s[2:3] offset:40
	global_load_dwordx4 v[22:25], v29, s[2:3]
	v_readfirstlane_b32 s14, v6
	v_readfirstlane_b32 s15, v7
	s_mov_b64 s[16:17], exec
	s_waitcnt vmcnt(1)
	v_readfirstlane_b32 s18, v30
	v_readfirstlane_b32 s19, v31
	s_and_b64 s[18:19], s[14:15], s[18:19]
	s_mul_i32 s20, s19, 24
	s_mul_hi_u32 s21, s18, 24
	s_mul_i32 s22, s18, 24
	s_add_i32 s20, s21, s20
	v_mov_b32_e32 v6, s20
	s_waitcnt vmcnt(0)
	v_add_co_u32_e32 v30, vcc, s22, v22
	v_addc_co_u32_e32 v31, vcc, v23, v6, vcc
	s_and_saveexec_b64 s[20:21], s[0:1]
	s_cbranch_execz .LBB8_365
; %bb.364:                              ;   in Loop: Header=BB8_302 Depth=1
	v_pk_mov_b32 v[6:7], s[16:17], s[16:17] op_sel:[0,1]
	global_store_dwordx4 v[30:31], v[6:9], off offset:8
.LBB8_365:                              ;   in Loop: Header=BB8_302 Depth=1
	s_or_b64 exec, exec, s[20:21]
	s_lshl_b64 s[16:17], s[18:19], 12
	v_mov_b32_e32 v7, s17
	v_add_co_u32_e32 v6, vcc, s16, v24
	v_addc_co_u32_e32 v7, vcc, v25, v7, vcc
	v_or_b32_e32 v25, v0, v26
	v_cmp_gt_u64_e64 vcc, s[10:11], 56
	s_lshl_b32 s16, s12, 2
	v_cndmask_b32_e32 v0, v25, v0, vcc
	s_add_i32 s16, s16, 28
	v_or_b32_e32 v24, 0, v1
	s_and_b32 s16, s16, 0x1e0
	v_and_b32_e32 v0, 0xffffff1f, v0
	v_cndmask_b32_e32 v1, v24, v1, vcc
	v_or_b32_e32 v0, s16, v0
	v_readfirstlane_b32 s16, v6
	v_readfirstlane_b32 s17, v7
	s_nop 4
	global_store_dwordx4 v34, v[0:3], s[16:17]
	global_store_dwordx4 v34, v[10:13], s[16:17] offset:16
	global_store_dwordx4 v34, v[14:17], s[16:17] offset:32
	;; [unrolled: 1-line block ×3, first 2 shown]
	s_and_saveexec_b64 s[16:17], s[0:1]
	s_cbranch_execz .LBB8_373
; %bb.366:                              ;   in Loop: Header=BB8_302 Depth=1
	global_load_dwordx2 v[14:15], v29, s[2:3] offset:32 glc
	global_load_dwordx2 v[0:1], v29, s[2:3] offset:40
	v_mov_b32_e32 v12, s14
	v_mov_b32_e32 v13, s15
	s_waitcnt vmcnt(0)
	v_readfirstlane_b32 s18, v0
	v_readfirstlane_b32 s19, v1
	s_and_b64 s[18:19], s[18:19], s[14:15]
	s_mul_i32 s19, s19, 24
	s_mul_hi_u32 s20, s18, 24
	s_mul_i32 s18, s18, 24
	s_add_i32 s19, s20, s19
	v_mov_b32_e32 v0, s19
	v_add_co_u32_e32 v10, vcc, s18, v22
	v_addc_co_u32_e32 v11, vcc, v23, v0, vcc
	global_store_dwordx2 v[10:11], v[14:15], off
	buffer_wbl2
	s_waitcnt vmcnt(0)
	global_atomic_cmpswap_x2 v[2:3], v29, v[12:15], s[2:3] offset:32 glc
	s_waitcnt vmcnt(0)
	v_cmp_ne_u64_e32 vcc, v[2:3], v[14:15]
	s_and_saveexec_b64 s[18:19], vcc
	s_cbranch_execz .LBB8_369
; %bb.367:                              ;   in Loop: Header=BB8_302 Depth=1
	s_mov_b64 s[20:21], 0
.LBB8_368:                              ;   Parent Loop BB8_302 Depth=1
                                        ; =>  This Inner Loop Header: Depth=2
	s_sleep 1
	global_store_dwordx2 v[10:11], v[2:3], off
	v_mov_b32_e32 v0, s14
	v_mov_b32_e32 v1, s15
	buffer_wbl2
	s_waitcnt vmcnt(0)
	global_atomic_cmpswap_x2 v[0:1], v29, v[0:3], s[2:3] offset:32 glc
	s_waitcnt vmcnt(0)
	v_cmp_eq_u64_e32 vcc, v[0:1], v[2:3]
	s_or_b64 s[20:21], vcc, s[20:21]
	v_pk_mov_b32 v[2:3], v[0:1], v[0:1] op_sel:[0,1]
	s_andn2_b64 exec, exec, s[20:21]
	s_cbranch_execnz .LBB8_368
.LBB8_369:                              ;   in Loop: Header=BB8_302 Depth=1
	s_or_b64 exec, exec, s[18:19]
	global_load_dwordx2 v[0:1], v29, s[2:3] offset:16
	s_mov_b64 s[20:21], exec
	v_mbcnt_lo_u32_b32 v2, s20, 0
	v_mbcnt_hi_u32_b32 v2, s21, v2
	v_cmp_eq_u32_e32 vcc, 0, v2
	s_and_saveexec_b64 s[18:19], vcc
	s_cbranch_execz .LBB8_371
; %bb.370:                              ;   in Loop: Header=BB8_302 Depth=1
	s_bcnt1_i32_b64 s20, s[20:21]
	v_mov_b32_e32 v28, s20
	buffer_wbl2
	s_waitcnt vmcnt(0)
	global_atomic_add_x2 v[0:1], v[28:29], off offset:8
.LBB8_371:                              ;   in Loop: Header=BB8_302 Depth=1
	s_or_b64 exec, exec, s[18:19]
	s_waitcnt vmcnt(0)
	global_load_dwordx2 v[2:3], v[0:1], off offset:16
	s_waitcnt vmcnt(0)
	v_cmp_eq_u64_e32 vcc, 0, v[2:3]
	s_cbranch_vccnz .LBB8_373
; %bb.372:                              ;   in Loop: Header=BB8_302 Depth=1
	global_load_dword v28, v[0:1], off offset:24
	s_waitcnt vmcnt(0)
	v_and_b32_e32 v0, 0xffffff, v28
	v_readfirstlane_b32 m0, v0
	buffer_wbl2
	global_store_dwordx2 v[2:3], v[28:29], off
	s_sendmsg sendmsg(MSG_INTERRUPT)
.LBB8_373:                              ;   in Loop: Header=BB8_302 Depth=1
	s_or_b64 exec, exec, s[16:17]
	v_add_co_u32_e32 v0, vcc, v6, v34
	v_addc_co_u32_e32 v1, vcc, 0, v7, vcc
	s_branch .LBB8_377
.LBB8_374:                              ;   in Loop: Header=BB8_377 Depth=2
	s_or_b64 exec, exec, s[16:17]
	v_readfirstlane_b32 s16, v2
	s_cmp_eq_u32 s16, 0
	s_cbranch_scc1 .LBB8_376
; %bb.375:                              ;   in Loop: Header=BB8_377 Depth=2
	s_sleep 1
	s_cbranch_execnz .LBB8_377
	s_branch .LBB8_379
.LBB8_376:                              ;   in Loop: Header=BB8_302 Depth=1
	s_branch .LBB8_379
.LBB8_377:                              ;   Parent Loop BB8_302 Depth=1
                                        ; =>  This Inner Loop Header: Depth=2
	v_mov_b32_e32 v2, 1
	s_and_saveexec_b64 s[16:17], s[0:1]
	s_cbranch_execz .LBB8_374
; %bb.378:                              ;   in Loop: Header=BB8_377 Depth=2
	global_load_dword v2, v[30:31], off offset:20 glc
	s_waitcnt vmcnt(0)
	buffer_invl2
	buffer_wbinvl1_vol
	v_and_b32_e32 v2, 1, v2
	s_branch .LBB8_374
.LBB8_379:                              ;   in Loop: Header=BB8_302 Depth=1
	global_load_dwordx4 v[0:3], v[0:1], off
	s_and_saveexec_b64 s[16:17], s[0:1]
	s_cbranch_execz .LBB8_301
; %bb.380:                              ;   in Loop: Header=BB8_302 Depth=1
	global_load_dwordx2 v[2:3], v29, s[2:3] offset:40
	global_load_dwordx2 v[6:7], v29, s[2:3] offset:24 glc
	global_load_dwordx2 v[14:15], v29, s[2:3]
	v_mov_b32_e32 v11, s15
	s_waitcnt vmcnt(2)
	v_add_co_u32_e32 v13, vcc, 1, v2
	v_addc_co_u32_e32 v16, vcc, 0, v3, vcc
	v_add_co_u32_e32 v10, vcc, s14, v13
	v_addc_co_u32_e32 v11, vcc, v16, v11, vcc
	v_cmp_eq_u64_e32 vcc, 0, v[10:11]
	v_cndmask_b32_e32 v11, v11, v16, vcc
	v_cndmask_b32_e32 v10, v10, v13, vcc
	v_and_b32_e32 v3, v11, v3
	v_and_b32_e32 v2, v10, v2
	v_mul_lo_u32 v3, v3, 24
	v_mul_hi_u32 v13, v2, 24
	v_mul_lo_u32 v2, v2, 24
	v_add_u32_e32 v3, v13, v3
	s_waitcnt vmcnt(0)
	v_add_co_u32_e32 v2, vcc, v14, v2
	v_addc_co_u32_e32 v3, vcc, v15, v3, vcc
	v_mov_b32_e32 v12, v6
	global_store_dwordx2 v[2:3], v[6:7], off
	v_mov_b32_e32 v13, v7
	buffer_wbl2
	s_waitcnt vmcnt(0)
	global_atomic_cmpswap_x2 v[12:13], v29, v[10:13], s[2:3] offset:24 glc
	s_waitcnt vmcnt(0)
	v_cmp_ne_u64_e32 vcc, v[12:13], v[6:7]
	s_and_b64 exec, exec, vcc
	s_cbranch_execz .LBB8_301
; %bb.381:                              ;   in Loop: Header=BB8_302 Depth=1
	s_mov_b64 s[0:1], 0
.LBB8_382:                              ;   Parent Loop BB8_302 Depth=1
                                        ; =>  This Inner Loop Header: Depth=2
	s_sleep 1
	global_store_dwordx2 v[2:3], v[12:13], off
	buffer_wbl2
	s_waitcnt vmcnt(0)
	global_atomic_cmpswap_x2 v[6:7], v29, v[10:13], s[2:3] offset:24 glc
	s_waitcnt vmcnt(0)
	v_cmp_eq_u64_e32 vcc, v[6:7], v[12:13]
	s_or_b64 s[0:1], vcc, s[0:1]
	v_pk_mov_b32 v[12:13], v[6:7], v[6:7] op_sel:[0,1]
	s_andn2_b64 exec, exec, s[0:1]
	s_cbranch_execnz .LBB8_382
	s_branch .LBB8_301
.LBB8_383:
.LBB8_384:
	s_and_b64 vcc, exec, s[6:7]
	s_cbranch_vccz .LBB8_496
.LBB8_385:
	s_waitcnt vmcnt(0)
	v_and_b32_e32 v28, 2, v0
	v_mov_b32_e32 v31, 0
	v_and_b32_e32 v2, -3, v0
	v_mov_b32_e32 v3, v1
	s_mov_b64 s[10:11], 52
	v_mov_b32_e32 v6, 2
	v_mov_b32_e32 v7, 1
	s_getpc_b64 s[8:9]
	s_add_u32 s8, s8, .str.10@rel32@lo+4
	s_addc_u32 s9, s9, .str.10@rel32@hi+12
	s_branch .LBB8_387
.LBB8_386:                              ;   in Loop: Header=BB8_387 Depth=1
	s_or_b64 exec, exec, s[16:17]
	s_sub_u32 s10, s10, s12
	s_subb_u32 s11, s11, s13
	s_add_u32 s8, s8, s12
	s_addc_u32 s9, s9, s13
	s_cmp_lg_u64 s[10:11], 0
	s_cbranch_scc0 .LBB8_468
.LBB8_387:                              ; =>This Loop Header: Depth=1
                                        ;     Child Loop BB8_390 Depth 2
                                        ;     Child Loop BB8_397 Depth 2
	;; [unrolled: 1-line block ×11, first 2 shown]
	v_cmp_lt_u64_e64 s[0:1], s[10:11], 56
	s_and_b64 s[0:1], s[0:1], exec
	v_cmp_gt_u64_e64 s[0:1], s[10:11], 7
	s_cselect_b32 s13, s11, 0
	s_cselect_b32 s12, s10, 56
	s_and_b64 vcc, exec, s[0:1]
	s_cbranch_vccnz .LBB8_392
; %bb.388:                              ;   in Loop: Header=BB8_387 Depth=1
	s_mov_b64 s[0:1], 0
	s_cmp_eq_u64 s[10:11], 0
	v_pk_mov_b32 v[10:11], 0, 0
	s_cbranch_scc1 .LBB8_391
; %bb.389:                              ;   in Loop: Header=BB8_387 Depth=1
	s_lshl_b64 s[14:15], s[12:13], 3
	s_mov_b64 s[16:17], 0
	v_pk_mov_b32 v[10:11], 0, 0
	s_mov_b64 s[18:19], s[8:9]
.LBB8_390:                              ;   Parent Loop BB8_387 Depth=1
                                        ; =>  This Inner Loop Header: Depth=2
	global_load_ubyte v4, v31, s[18:19]
	s_waitcnt vmcnt(0)
	v_and_b32_e32 v30, 0xffff, v4
	v_lshlrev_b64 v[4:5], s16, v[30:31]
	s_add_u32 s16, s16, 8
	s_addc_u32 s17, s17, 0
	s_add_u32 s18, s18, 1
	s_addc_u32 s19, s19, 0
	v_or_b32_e32 v10, v4, v10
	s_cmp_lg_u32 s14, s16
	v_or_b32_e32 v11, v5, v11
	s_cbranch_scc1 .LBB8_390
.LBB8_391:                              ;   in Loop: Header=BB8_387 Depth=1
	s_mov_b32 s18, 0
	s_andn2_b64 vcc, exec, s[0:1]
	s_mov_b64 s[0:1], s[8:9]
	s_cbranch_vccz .LBB8_393
	s_branch .LBB8_394
.LBB8_392:                              ;   in Loop: Header=BB8_387 Depth=1
                                        ; implicit-def: $vgpr10_vgpr11
                                        ; implicit-def: $sgpr18
	s_mov_b64 s[0:1], s[8:9]
.LBB8_393:                              ;   in Loop: Header=BB8_387 Depth=1
	global_load_dwordx2 v[10:11], v31, s[8:9]
	s_add_i32 s18, s12, -8
	s_add_u32 s0, s8, 8
	s_addc_u32 s1, s9, 0
.LBB8_394:                              ;   in Loop: Header=BB8_387 Depth=1
	s_cmp_gt_u32 s18, 7
	s_cbranch_scc1 .LBB8_398
; %bb.395:                              ;   in Loop: Header=BB8_387 Depth=1
	s_cmp_eq_u32 s18, 0
	s_cbranch_scc1 .LBB8_399
; %bb.396:                              ;   in Loop: Header=BB8_387 Depth=1
	s_mov_b64 s[14:15], 0
	v_pk_mov_b32 v[12:13], 0, 0
	s_mov_b64 s[16:17], 0
.LBB8_397:                              ;   Parent Loop BB8_387 Depth=1
                                        ; =>  This Inner Loop Header: Depth=2
	s_add_u32 s20, s0, s16
	s_addc_u32 s21, s1, s17
	global_load_ubyte v4, v31, s[20:21]
	s_add_u32 s16, s16, 1
	s_addc_u32 s17, s17, 0
	s_waitcnt vmcnt(0)
	v_and_b32_e32 v30, 0xffff, v4
	v_lshlrev_b64 v[4:5], s14, v[30:31]
	s_add_u32 s14, s14, 8
	s_addc_u32 s15, s15, 0
	v_or_b32_e32 v12, v4, v12
	s_cmp_lg_u32 s18, s16
	v_or_b32_e32 v13, v5, v13
	s_cbranch_scc1 .LBB8_397
	s_branch .LBB8_400
.LBB8_398:                              ;   in Loop: Header=BB8_387 Depth=1
                                        ; implicit-def: $vgpr12_vgpr13
                                        ; implicit-def: $sgpr19
	s_branch .LBB8_401
.LBB8_399:                              ;   in Loop: Header=BB8_387 Depth=1
	v_pk_mov_b32 v[12:13], 0, 0
.LBB8_400:                              ;   in Loop: Header=BB8_387 Depth=1
	s_mov_b32 s19, 0
	s_cbranch_execnz .LBB8_402
.LBB8_401:                              ;   in Loop: Header=BB8_387 Depth=1
	global_load_dwordx2 v[12:13], v31, s[0:1]
	s_add_i32 s19, s18, -8
	s_add_u32 s0, s0, 8
	s_addc_u32 s1, s1, 0
.LBB8_402:                              ;   in Loop: Header=BB8_387 Depth=1
	s_cmp_gt_u32 s19, 7
	s_cbranch_scc1 .LBB8_406
; %bb.403:                              ;   in Loop: Header=BB8_387 Depth=1
	s_cmp_eq_u32 s19, 0
	s_cbranch_scc1 .LBB8_407
; %bb.404:                              ;   in Loop: Header=BB8_387 Depth=1
	s_mov_b64 s[14:15], 0
	v_pk_mov_b32 v[14:15], 0, 0
	s_mov_b64 s[16:17], 0
.LBB8_405:                              ;   Parent Loop BB8_387 Depth=1
                                        ; =>  This Inner Loop Header: Depth=2
	s_add_u32 s20, s0, s16
	s_addc_u32 s21, s1, s17
	global_load_ubyte v4, v31, s[20:21]
	s_add_u32 s16, s16, 1
	s_addc_u32 s17, s17, 0
	s_waitcnt vmcnt(0)
	v_and_b32_e32 v30, 0xffff, v4
	v_lshlrev_b64 v[4:5], s14, v[30:31]
	s_add_u32 s14, s14, 8
	s_addc_u32 s15, s15, 0
	v_or_b32_e32 v14, v4, v14
	s_cmp_lg_u32 s19, s16
	v_or_b32_e32 v15, v5, v15
	s_cbranch_scc1 .LBB8_405
	s_branch .LBB8_408
.LBB8_406:                              ;   in Loop: Header=BB8_387 Depth=1
                                        ; implicit-def: $sgpr18
	s_branch .LBB8_409
.LBB8_407:                              ;   in Loop: Header=BB8_387 Depth=1
	v_pk_mov_b32 v[14:15], 0, 0
.LBB8_408:                              ;   in Loop: Header=BB8_387 Depth=1
	s_mov_b32 s18, 0
	s_cbranch_execnz .LBB8_410
.LBB8_409:                              ;   in Loop: Header=BB8_387 Depth=1
	global_load_dwordx2 v[14:15], v31, s[0:1]
	s_add_i32 s18, s19, -8
	s_add_u32 s0, s0, 8
	s_addc_u32 s1, s1, 0
.LBB8_410:                              ;   in Loop: Header=BB8_387 Depth=1
	s_cmp_gt_u32 s18, 7
	s_cbranch_scc1 .LBB8_414
; %bb.411:                              ;   in Loop: Header=BB8_387 Depth=1
	s_cmp_eq_u32 s18, 0
	s_cbranch_scc1 .LBB8_415
; %bb.412:                              ;   in Loop: Header=BB8_387 Depth=1
	s_mov_b64 s[14:15], 0
	v_pk_mov_b32 v[16:17], 0, 0
	s_mov_b64 s[16:17], 0
.LBB8_413:                              ;   Parent Loop BB8_387 Depth=1
                                        ; =>  This Inner Loop Header: Depth=2
	s_add_u32 s20, s0, s16
	s_addc_u32 s21, s1, s17
	global_load_ubyte v4, v31, s[20:21]
	s_add_u32 s16, s16, 1
	s_addc_u32 s17, s17, 0
	s_waitcnt vmcnt(0)
	v_and_b32_e32 v30, 0xffff, v4
	v_lshlrev_b64 v[4:5], s14, v[30:31]
	s_add_u32 s14, s14, 8
	s_addc_u32 s15, s15, 0
	v_or_b32_e32 v16, v4, v16
	s_cmp_lg_u32 s18, s16
	v_or_b32_e32 v17, v5, v17
	s_cbranch_scc1 .LBB8_413
	s_branch .LBB8_416
.LBB8_414:                              ;   in Loop: Header=BB8_387 Depth=1
                                        ; implicit-def: $vgpr16_vgpr17
                                        ; implicit-def: $sgpr19
	s_branch .LBB8_417
.LBB8_415:                              ;   in Loop: Header=BB8_387 Depth=1
	v_pk_mov_b32 v[16:17], 0, 0
.LBB8_416:                              ;   in Loop: Header=BB8_387 Depth=1
	s_mov_b32 s19, 0
	s_cbranch_execnz .LBB8_418
.LBB8_417:                              ;   in Loop: Header=BB8_387 Depth=1
	global_load_dwordx2 v[16:17], v31, s[0:1]
	s_add_i32 s19, s18, -8
	s_add_u32 s0, s0, 8
	s_addc_u32 s1, s1, 0
.LBB8_418:                              ;   in Loop: Header=BB8_387 Depth=1
	s_cmp_gt_u32 s19, 7
	s_cbranch_scc1 .LBB8_422
; %bb.419:                              ;   in Loop: Header=BB8_387 Depth=1
	s_cmp_eq_u32 s19, 0
	s_cbranch_scc1 .LBB8_423
; %bb.420:                              ;   in Loop: Header=BB8_387 Depth=1
	s_mov_b64 s[14:15], 0
	v_pk_mov_b32 v[18:19], 0, 0
	s_mov_b64 s[16:17], 0
.LBB8_421:                              ;   Parent Loop BB8_387 Depth=1
                                        ; =>  This Inner Loop Header: Depth=2
	s_add_u32 s20, s0, s16
	s_addc_u32 s21, s1, s17
	global_load_ubyte v4, v31, s[20:21]
	s_add_u32 s16, s16, 1
	s_addc_u32 s17, s17, 0
	s_waitcnt vmcnt(0)
	v_and_b32_e32 v30, 0xffff, v4
	v_lshlrev_b64 v[4:5], s14, v[30:31]
	s_add_u32 s14, s14, 8
	s_addc_u32 s15, s15, 0
	v_or_b32_e32 v18, v4, v18
	s_cmp_lg_u32 s19, s16
	v_or_b32_e32 v19, v5, v19
	s_cbranch_scc1 .LBB8_421
	s_branch .LBB8_424
.LBB8_422:                              ;   in Loop: Header=BB8_387 Depth=1
                                        ; implicit-def: $sgpr18
	s_branch .LBB8_425
.LBB8_423:                              ;   in Loop: Header=BB8_387 Depth=1
	v_pk_mov_b32 v[18:19], 0, 0
.LBB8_424:                              ;   in Loop: Header=BB8_387 Depth=1
	s_mov_b32 s18, 0
	s_cbranch_execnz .LBB8_426
.LBB8_425:                              ;   in Loop: Header=BB8_387 Depth=1
	global_load_dwordx2 v[18:19], v31, s[0:1]
	s_add_i32 s18, s19, -8
	s_add_u32 s0, s0, 8
	s_addc_u32 s1, s1, 0
.LBB8_426:                              ;   in Loop: Header=BB8_387 Depth=1
	s_cmp_gt_u32 s18, 7
	s_cbranch_scc1 .LBB8_430
; %bb.427:                              ;   in Loop: Header=BB8_387 Depth=1
	s_cmp_eq_u32 s18, 0
	s_cbranch_scc1 .LBB8_431
; %bb.428:                              ;   in Loop: Header=BB8_387 Depth=1
	s_mov_b64 s[14:15], 0
	v_pk_mov_b32 v[20:21], 0, 0
	s_mov_b64 s[16:17], 0
.LBB8_429:                              ;   Parent Loop BB8_387 Depth=1
                                        ; =>  This Inner Loop Header: Depth=2
	s_add_u32 s20, s0, s16
	s_addc_u32 s21, s1, s17
	global_load_ubyte v4, v31, s[20:21]
	s_add_u32 s16, s16, 1
	s_addc_u32 s17, s17, 0
	s_waitcnt vmcnt(0)
	v_and_b32_e32 v30, 0xffff, v4
	v_lshlrev_b64 v[4:5], s14, v[30:31]
	s_add_u32 s14, s14, 8
	s_addc_u32 s15, s15, 0
	v_or_b32_e32 v20, v4, v20
	s_cmp_lg_u32 s18, s16
	v_or_b32_e32 v21, v5, v21
	s_cbranch_scc1 .LBB8_429
	s_branch .LBB8_432
.LBB8_430:                              ;   in Loop: Header=BB8_387 Depth=1
                                        ; implicit-def: $vgpr20_vgpr21
                                        ; implicit-def: $sgpr19
	s_branch .LBB8_433
.LBB8_431:                              ;   in Loop: Header=BB8_387 Depth=1
	v_pk_mov_b32 v[20:21], 0, 0
.LBB8_432:                              ;   in Loop: Header=BB8_387 Depth=1
	s_mov_b32 s19, 0
	s_cbranch_execnz .LBB8_434
.LBB8_433:                              ;   in Loop: Header=BB8_387 Depth=1
	global_load_dwordx2 v[20:21], v31, s[0:1]
	s_add_i32 s19, s18, -8
	s_add_u32 s0, s0, 8
	s_addc_u32 s1, s1, 0
.LBB8_434:                              ;   in Loop: Header=BB8_387 Depth=1
	s_cmp_gt_u32 s19, 7
	s_cbranch_scc1 .LBB8_438
; %bb.435:                              ;   in Loop: Header=BB8_387 Depth=1
	s_cmp_eq_u32 s19, 0
	s_cbranch_scc1 .LBB8_439
; %bb.436:                              ;   in Loop: Header=BB8_387 Depth=1
	s_mov_b64 s[14:15], 0
	v_pk_mov_b32 v[22:23], 0, 0
	s_mov_b64 s[16:17], s[0:1]
.LBB8_437:                              ;   Parent Loop BB8_387 Depth=1
                                        ; =>  This Inner Loop Header: Depth=2
	global_load_ubyte v4, v31, s[16:17]
	s_add_i32 s19, s19, -1
	s_waitcnt vmcnt(0)
	v_and_b32_e32 v30, 0xffff, v4
	v_lshlrev_b64 v[4:5], s14, v[30:31]
	s_add_u32 s14, s14, 8
	s_addc_u32 s15, s15, 0
	s_add_u32 s16, s16, 1
	s_addc_u32 s17, s17, 0
	v_or_b32_e32 v22, v4, v22
	s_cmp_lg_u32 s19, 0
	v_or_b32_e32 v23, v5, v23
	s_cbranch_scc1 .LBB8_437
	s_branch .LBB8_440
.LBB8_438:                              ;   in Loop: Header=BB8_387 Depth=1
	s_branch .LBB8_441
.LBB8_439:                              ;   in Loop: Header=BB8_387 Depth=1
	v_pk_mov_b32 v[22:23], 0, 0
.LBB8_440:                              ;   in Loop: Header=BB8_387 Depth=1
	s_cbranch_execnz .LBB8_442
.LBB8_441:                              ;   in Loop: Header=BB8_387 Depth=1
	global_load_dwordx2 v[22:23], v31, s[0:1]
.LBB8_442:                              ;   in Loop: Header=BB8_387 Depth=1
	v_readfirstlane_b32 s0, v35
	v_cmp_eq_u32_e64 s[0:1], s0, v35
	s_waitcnt vmcnt(0)
	v_pk_mov_b32 v[4:5], 0, 0
	s_and_saveexec_b64 s[14:15], s[0:1]
	s_cbranch_execz .LBB8_448
; %bb.443:                              ;   in Loop: Header=BB8_387 Depth=1
	global_load_dwordx2 v[26:27], v31, s[2:3] offset:24 glc
	s_waitcnt vmcnt(0)
	buffer_invl2
	buffer_wbinvl1_vol
	global_load_dwordx2 v[4:5], v31, s[2:3] offset:40
	global_load_dwordx2 v[8:9], v31, s[2:3]
	s_waitcnt vmcnt(1)
	v_and_b32_e32 v4, v4, v26
	v_and_b32_e32 v5, v5, v27
	v_mul_lo_u32 v5, v5, 24
	v_mul_hi_u32 v24, v4, 24
	v_mul_lo_u32 v4, v4, 24
	v_add_u32_e32 v5, v24, v5
	s_waitcnt vmcnt(0)
	v_add_co_u32_e32 v4, vcc, v8, v4
	v_addc_co_u32_e32 v5, vcc, v9, v5, vcc
	global_load_dwordx2 v[24:25], v[4:5], off glc
	s_waitcnt vmcnt(0)
	global_atomic_cmpswap_x2 v[4:5], v31, v[24:27], s[2:3] offset:24 glc
	s_waitcnt vmcnt(0)
	buffer_invl2
	buffer_wbinvl1_vol
	v_cmp_ne_u64_e32 vcc, v[4:5], v[26:27]
	s_and_saveexec_b64 s[16:17], vcc
	s_cbranch_execz .LBB8_447
; %bb.444:                              ;   in Loop: Header=BB8_387 Depth=1
	s_mov_b64 s[18:19], 0
.LBB8_445:                              ;   Parent Loop BB8_387 Depth=1
                                        ; =>  This Inner Loop Header: Depth=2
	s_sleep 1
	global_load_dwordx2 v[8:9], v31, s[2:3] offset:40
	global_load_dwordx2 v[24:25], v31, s[2:3]
	v_pk_mov_b32 v[26:27], v[4:5], v[4:5] op_sel:[0,1]
	s_waitcnt vmcnt(1)
	v_and_b32_e32 v4, v8, v26
	s_waitcnt vmcnt(0)
	v_mad_u64_u32 v[4:5], s[20:21], v4, 24, v[24:25]
	v_and_b32_e32 v9, v9, v27
	v_mov_b32_e32 v8, v5
	v_mad_u64_u32 v[8:9], s[20:21], v9, 24, v[8:9]
	v_mov_b32_e32 v5, v8
	global_load_dwordx2 v[24:25], v[4:5], off glc
	s_waitcnt vmcnt(0)
	global_atomic_cmpswap_x2 v[4:5], v31, v[24:27], s[2:3] offset:24 glc
	s_waitcnt vmcnt(0)
	buffer_invl2
	buffer_wbinvl1_vol
	v_cmp_eq_u64_e32 vcc, v[4:5], v[26:27]
	s_or_b64 s[18:19], vcc, s[18:19]
	s_andn2_b64 exec, exec, s[18:19]
	s_cbranch_execnz .LBB8_445
; %bb.446:                              ;   in Loop: Header=BB8_387 Depth=1
	s_or_b64 exec, exec, s[18:19]
.LBB8_447:                              ;   in Loop: Header=BB8_387 Depth=1
	s_or_b64 exec, exec, s[16:17]
.LBB8_448:                              ;   in Loop: Header=BB8_387 Depth=1
	s_or_b64 exec, exec, s[14:15]
	global_load_dwordx2 v[8:9], v31, s[2:3] offset:40
	global_load_dwordx4 v[24:27], v31, s[2:3]
	v_readfirstlane_b32 s14, v4
	v_readfirstlane_b32 s15, v5
	s_mov_b64 s[16:17], exec
	s_waitcnt vmcnt(1)
	v_readfirstlane_b32 s18, v8
	v_readfirstlane_b32 s19, v9
	s_and_b64 s[18:19], s[14:15], s[18:19]
	s_mul_i32 s20, s19, 24
	s_mul_hi_u32 s21, s18, 24
	s_mul_i32 s22, s18, 24
	s_add_i32 s20, s21, s20
	v_mov_b32_e32 v4, s20
	s_waitcnt vmcnt(0)
	v_add_co_u32_e32 v32, vcc, s22, v24
	v_addc_co_u32_e32 v33, vcc, v25, v4, vcc
	s_and_saveexec_b64 s[20:21], s[0:1]
	s_cbranch_execz .LBB8_450
; %bb.449:                              ;   in Loop: Header=BB8_387 Depth=1
	v_pk_mov_b32 v[4:5], s[16:17], s[16:17] op_sel:[0,1]
	global_store_dwordx4 v[32:33], v[4:7], off offset:8
.LBB8_450:                              ;   in Loop: Header=BB8_387 Depth=1
	s_or_b64 exec, exec, s[20:21]
	s_lshl_b64 s[16:17], s[18:19], 12
	v_mov_b32_e32 v4, s17
	v_add_co_u32_e32 v26, vcc, s16, v26
	v_addc_co_u32_e32 v27, vcc, v27, v4, vcc
	v_or_b32_e32 v5, v2, v28
	v_cmp_gt_u64_e64 vcc, s[10:11], 56
	s_lshl_b32 s16, s12, 2
	v_cndmask_b32_e32 v2, v5, v2, vcc
	s_add_i32 s16, s16, 28
	v_or_b32_e32 v4, 0, v3
	s_and_b32 s16, s16, 0x1e0
	v_and_b32_e32 v2, 0xffffff1f, v2
	v_cndmask_b32_e32 v9, v4, v3, vcc
	v_or_b32_e32 v8, s16, v2
	v_readfirstlane_b32 s16, v26
	v_readfirstlane_b32 s17, v27
	s_nop 4
	global_store_dwordx4 v34, v[8:11], s[16:17]
	global_store_dwordx4 v34, v[12:15], s[16:17] offset:16
	global_store_dwordx4 v34, v[16:19], s[16:17] offset:32
	global_store_dwordx4 v34, v[20:23], s[16:17] offset:48
	s_and_saveexec_b64 s[16:17], s[0:1]
	s_cbranch_execz .LBB8_458
; %bb.451:                              ;   in Loop: Header=BB8_387 Depth=1
	global_load_dwordx2 v[12:13], v31, s[2:3] offset:32 glc
	global_load_dwordx2 v[2:3], v31, s[2:3] offset:40
	v_mov_b32_e32 v10, s14
	v_mov_b32_e32 v11, s15
	s_waitcnt vmcnt(0)
	v_readfirstlane_b32 s18, v2
	v_readfirstlane_b32 s19, v3
	s_and_b64 s[18:19], s[18:19], s[14:15]
	s_mul_i32 s19, s19, 24
	s_mul_hi_u32 s20, s18, 24
	s_mul_i32 s18, s18, 24
	s_add_i32 s19, s20, s19
	v_mov_b32_e32 v2, s19
	v_add_co_u32_e32 v8, vcc, s18, v24
	v_addc_co_u32_e32 v9, vcc, v25, v2, vcc
	global_store_dwordx2 v[8:9], v[12:13], off
	buffer_wbl2
	s_waitcnt vmcnt(0)
	global_atomic_cmpswap_x2 v[4:5], v31, v[10:13], s[2:3] offset:32 glc
	s_waitcnt vmcnt(0)
	v_cmp_ne_u64_e32 vcc, v[4:5], v[12:13]
	s_and_saveexec_b64 s[18:19], vcc
	s_cbranch_execz .LBB8_454
; %bb.452:                              ;   in Loop: Header=BB8_387 Depth=1
	s_mov_b64 s[20:21], 0
.LBB8_453:                              ;   Parent Loop BB8_387 Depth=1
                                        ; =>  This Inner Loop Header: Depth=2
	s_sleep 1
	global_store_dwordx2 v[8:9], v[4:5], off
	v_mov_b32_e32 v2, s14
	v_mov_b32_e32 v3, s15
	buffer_wbl2
	s_waitcnt vmcnt(0)
	global_atomic_cmpswap_x2 v[2:3], v31, v[2:5], s[2:3] offset:32 glc
	s_waitcnt vmcnt(0)
	v_cmp_eq_u64_e32 vcc, v[2:3], v[4:5]
	s_or_b64 s[20:21], vcc, s[20:21]
	v_pk_mov_b32 v[4:5], v[2:3], v[2:3] op_sel:[0,1]
	s_andn2_b64 exec, exec, s[20:21]
	s_cbranch_execnz .LBB8_453
.LBB8_454:                              ;   in Loop: Header=BB8_387 Depth=1
	s_or_b64 exec, exec, s[18:19]
	global_load_dwordx2 v[2:3], v31, s[2:3] offset:16
	s_mov_b64 s[20:21], exec
	v_mbcnt_lo_u32_b32 v4, s20, 0
	v_mbcnt_hi_u32_b32 v4, s21, v4
	v_cmp_eq_u32_e32 vcc, 0, v4
	s_and_saveexec_b64 s[18:19], vcc
	s_cbranch_execz .LBB8_456
; %bb.455:                              ;   in Loop: Header=BB8_387 Depth=1
	s_bcnt1_i32_b64 s20, s[20:21]
	v_mov_b32_e32 v30, s20
	buffer_wbl2
	s_waitcnt vmcnt(0)
	global_atomic_add_x2 v[2:3], v[30:31], off offset:8
.LBB8_456:                              ;   in Loop: Header=BB8_387 Depth=1
	s_or_b64 exec, exec, s[18:19]
	s_waitcnt vmcnt(0)
	global_load_dwordx2 v[4:5], v[2:3], off offset:16
	s_waitcnt vmcnt(0)
	v_cmp_eq_u64_e32 vcc, 0, v[4:5]
	s_cbranch_vccnz .LBB8_458
; %bb.457:                              ;   in Loop: Header=BB8_387 Depth=1
	global_load_dword v30, v[2:3], off offset:24
	s_waitcnt vmcnt(0)
	v_and_b32_e32 v2, 0xffffff, v30
	v_readfirstlane_b32 m0, v2
	buffer_wbl2
	global_store_dwordx2 v[4:5], v[30:31], off
	s_sendmsg sendmsg(MSG_INTERRUPT)
.LBB8_458:                              ;   in Loop: Header=BB8_387 Depth=1
	s_or_b64 exec, exec, s[16:17]
	v_add_co_u32_e32 v2, vcc, v26, v34
	v_addc_co_u32_e32 v3, vcc, 0, v27, vcc
	s_branch .LBB8_462
.LBB8_459:                              ;   in Loop: Header=BB8_462 Depth=2
	s_or_b64 exec, exec, s[16:17]
	v_readfirstlane_b32 s16, v4
	s_cmp_eq_u32 s16, 0
	s_cbranch_scc1 .LBB8_461
; %bb.460:                              ;   in Loop: Header=BB8_462 Depth=2
	s_sleep 1
	s_cbranch_execnz .LBB8_462
	s_branch .LBB8_464
.LBB8_461:                              ;   in Loop: Header=BB8_387 Depth=1
	s_branch .LBB8_464
.LBB8_462:                              ;   Parent Loop BB8_387 Depth=1
                                        ; =>  This Inner Loop Header: Depth=2
	v_mov_b32_e32 v4, 1
	s_and_saveexec_b64 s[16:17], s[0:1]
	s_cbranch_execz .LBB8_459
; %bb.463:                              ;   in Loop: Header=BB8_462 Depth=2
	global_load_dword v4, v[32:33], off offset:20 glc
	s_waitcnt vmcnt(0)
	buffer_invl2
	buffer_wbinvl1_vol
	v_and_b32_e32 v4, 1, v4
	s_branch .LBB8_459
.LBB8_464:                              ;   in Loop: Header=BB8_387 Depth=1
	global_load_dwordx4 v[2:5], v[2:3], off
	s_and_saveexec_b64 s[16:17], s[0:1]
	s_cbranch_execz .LBB8_386
; %bb.465:                              ;   in Loop: Header=BB8_387 Depth=1
	global_load_dwordx2 v[4:5], v31, s[2:3] offset:40
	global_load_dwordx2 v[12:13], v31, s[2:3] offset:24 glc
	global_load_dwordx2 v[14:15], v31, s[2:3]
	v_mov_b32_e32 v9, s15
	s_waitcnt vmcnt(2)
	v_add_co_u32_e32 v11, vcc, 1, v4
	v_addc_co_u32_e32 v16, vcc, 0, v5, vcc
	v_add_co_u32_e32 v8, vcc, s14, v11
	v_addc_co_u32_e32 v9, vcc, v16, v9, vcc
	v_cmp_eq_u64_e32 vcc, 0, v[8:9]
	v_cndmask_b32_e32 v9, v9, v16, vcc
	v_cndmask_b32_e32 v8, v8, v11, vcc
	v_and_b32_e32 v5, v9, v5
	v_and_b32_e32 v4, v8, v4
	v_mul_lo_u32 v5, v5, 24
	v_mul_hi_u32 v11, v4, 24
	v_mul_lo_u32 v4, v4, 24
	v_add_u32_e32 v5, v11, v5
	s_waitcnt vmcnt(0)
	v_add_co_u32_e32 v4, vcc, v14, v4
	v_addc_co_u32_e32 v5, vcc, v15, v5, vcc
	v_mov_b32_e32 v10, v12
	global_store_dwordx2 v[4:5], v[12:13], off
	v_mov_b32_e32 v11, v13
	buffer_wbl2
	s_waitcnt vmcnt(0)
	global_atomic_cmpswap_x2 v[10:11], v31, v[8:11], s[2:3] offset:24 glc
	s_waitcnt vmcnt(0)
	v_cmp_ne_u64_e32 vcc, v[10:11], v[12:13]
	s_and_b64 exec, exec, vcc
	s_cbranch_execz .LBB8_386
; %bb.466:                              ;   in Loop: Header=BB8_387 Depth=1
	s_mov_b64 s[0:1], 0
.LBB8_467:                              ;   Parent Loop BB8_387 Depth=1
                                        ; =>  This Inner Loop Header: Depth=2
	s_sleep 1
	global_store_dwordx2 v[4:5], v[10:11], off
	buffer_wbl2
	s_waitcnt vmcnt(0)
	global_atomic_cmpswap_x2 v[12:13], v31, v[8:11], s[2:3] offset:24 glc
	s_waitcnt vmcnt(0)
	v_cmp_eq_u64_e32 vcc, v[12:13], v[10:11]
	s_or_b64 s[0:1], vcc, s[0:1]
	v_pk_mov_b32 v[10:11], v[12:13], v[12:13] op_sel:[0,1]
	s_andn2_b64 exec, exec, s[0:1]
	s_cbranch_execnz .LBB8_467
	s_branch .LBB8_386
.LBB8_468:
	s_branch .LBB8_523
.LBB8_469:
                                        ; implicit-def: $vgpr0_vgpr1
	s_cbranch_execz .LBB8_384
; %bb.470:
	v_readfirstlane_b32 s0, v35
	v_cmp_eq_u32_e64 s[0:1], s0, v35
	v_pk_mov_b32 v[8:9], 0, 0
	s_and_saveexec_b64 s[8:9], s[0:1]
	s_cbranch_execz .LBB8_476
; %bb.471:
	s_waitcnt vmcnt(0)
	v_mov_b32_e32 v0, 0
	global_load_dwordx2 v[10:11], v0, s[2:3] offset:24 glc
	s_waitcnt vmcnt(0)
	buffer_invl2
	buffer_wbinvl1_vol
	global_load_dwordx2 v[2:3], v0, s[2:3] offset:40
	global_load_dwordx2 v[6:7], v0, s[2:3]
	s_waitcnt vmcnt(1)
	v_and_b32_e32 v1, v2, v10
	v_and_b32_e32 v2, v3, v11
	v_mul_lo_u32 v2, v2, 24
	v_mul_hi_u32 v3, v1, 24
	v_mul_lo_u32 v1, v1, 24
	v_add_u32_e32 v3, v3, v2
	s_waitcnt vmcnt(0)
	v_add_co_u32_e32 v2, vcc, v6, v1
	v_addc_co_u32_e32 v3, vcc, v7, v3, vcc
	global_load_dwordx2 v[8:9], v[2:3], off glc
	s_waitcnt vmcnt(0)
	global_atomic_cmpswap_x2 v[8:9], v0, v[8:11], s[2:3] offset:24 glc
	s_waitcnt vmcnt(0)
	buffer_invl2
	buffer_wbinvl1_vol
	v_cmp_ne_u64_e32 vcc, v[8:9], v[10:11]
	s_and_saveexec_b64 s[10:11], vcc
	s_cbranch_execz .LBB8_475
; %bb.472:
	s_mov_b64 s[12:13], 0
.LBB8_473:                              ; =>This Inner Loop Header: Depth=1
	s_sleep 1
	global_load_dwordx2 v[2:3], v0, s[2:3] offset:40
	global_load_dwordx2 v[6:7], v0, s[2:3]
	v_pk_mov_b32 v[10:11], v[8:9], v[8:9] op_sel:[0,1]
	s_waitcnt vmcnt(1)
	v_and_b32_e32 v2, v2, v10
	v_and_b32_e32 v1, v3, v11
	s_waitcnt vmcnt(0)
	v_mad_u64_u32 v[2:3], s[14:15], v2, 24, v[6:7]
	v_mov_b32_e32 v6, v3
	v_mad_u64_u32 v[6:7], s[14:15], v1, 24, v[6:7]
	v_mov_b32_e32 v3, v6
	global_load_dwordx2 v[8:9], v[2:3], off glc
	s_waitcnt vmcnt(0)
	global_atomic_cmpswap_x2 v[8:9], v0, v[8:11], s[2:3] offset:24 glc
	s_waitcnt vmcnt(0)
	buffer_invl2
	buffer_wbinvl1_vol
	v_cmp_eq_u64_e32 vcc, v[8:9], v[10:11]
	s_or_b64 s[12:13], vcc, s[12:13]
	s_andn2_b64 exec, exec, s[12:13]
	s_cbranch_execnz .LBB8_473
; %bb.474:
	s_or_b64 exec, exec, s[12:13]
.LBB8_475:
	s_or_b64 exec, exec, s[10:11]
.LBB8_476:
	s_or_b64 exec, exec, s[8:9]
	v_mov_b32_e32 v6, 0
	global_load_dwordx2 v[10:11], v6, s[2:3] offset:40
	global_load_dwordx4 v[0:3], v6, s[2:3]
	v_readfirstlane_b32 s8, v8
	v_readfirstlane_b32 s9, v9
	s_mov_b64 s[10:11], exec
	s_waitcnt vmcnt(1)
	v_readfirstlane_b32 s12, v10
	v_readfirstlane_b32 s13, v11
	s_and_b64 s[12:13], s[8:9], s[12:13]
	s_mul_i32 s14, s13, 24
	s_mul_hi_u32 s15, s12, 24
	s_mul_i32 s16, s12, 24
	s_add_i32 s14, s15, s14
	v_mov_b32_e32 v7, s14
	s_waitcnt vmcnt(0)
	v_add_co_u32_e32 v8, vcc, s16, v0
	v_addc_co_u32_e32 v9, vcc, v1, v7, vcc
	s_and_saveexec_b64 s[14:15], s[0:1]
	s_cbranch_execz .LBB8_478
; %bb.477:
	v_pk_mov_b32 v[10:11], s[10:11], s[10:11] op_sel:[0,1]
	v_mov_b32_e32 v12, 2
	v_mov_b32_e32 v13, 1
	global_store_dwordx4 v[8:9], v[10:13], off offset:8
.LBB8_478:
	s_or_b64 exec, exec, s[14:15]
	s_lshl_b64 s[10:11], s[12:13], 12
	v_mov_b32_e32 v7, s11
	v_add_co_u32_e32 v2, vcc, s10, v2
	v_addc_co_u32_e32 v3, vcc, v3, v7, vcc
	s_movk_i32 s10, 0xff1f
	s_mov_b32 s12, 0
	v_and_or_b32 v4, v4, s10, 32
	v_add_co_u32_e32 v10, vcc, v2, v34
	v_mov_b32_e32 v7, v6
	v_readfirstlane_b32 s10, v2
	v_readfirstlane_b32 s11, v3
	s_mov_b32 s13, s12
	v_addc_co_u32_e32 v11, vcc, 0, v3, vcc
	s_mov_b32 s14, s12
	s_mov_b32 s15, s12
	s_nop 0
	global_store_dwordx4 v34, v[4:7], s[10:11]
	v_pk_mov_b32 v[2:3], s[12:13], s[12:13] op_sel:[0,1]
	v_pk_mov_b32 v[4:5], s[14:15], s[14:15] op_sel:[0,1]
	global_store_dwordx4 v34, v[2:5], s[10:11] offset:16
	global_store_dwordx4 v34, v[2:5], s[10:11] offset:32
	;; [unrolled: 1-line block ×3, first 2 shown]
	s_and_saveexec_b64 s[10:11], s[0:1]
	s_cbranch_execz .LBB8_486
; %bb.479:
	v_mov_b32_e32 v6, 0
	global_load_dwordx2 v[14:15], v6, s[2:3] offset:32 glc
	global_load_dwordx2 v[2:3], v6, s[2:3] offset:40
	v_mov_b32_e32 v12, s8
	v_mov_b32_e32 v13, s9
	s_waitcnt vmcnt(0)
	v_readfirstlane_b32 s12, v2
	v_readfirstlane_b32 s13, v3
	s_and_b64 s[12:13], s[12:13], s[8:9]
	s_mul_i32 s13, s13, 24
	s_mul_hi_u32 s14, s12, 24
	s_mul_i32 s12, s12, 24
	s_add_i32 s13, s14, s13
	v_mov_b32_e32 v2, s13
	v_add_co_u32_e32 v4, vcc, s12, v0
	v_addc_co_u32_e32 v5, vcc, v1, v2, vcc
	global_store_dwordx2 v[4:5], v[14:15], off
	buffer_wbl2
	s_waitcnt vmcnt(0)
	global_atomic_cmpswap_x2 v[2:3], v6, v[12:15], s[2:3] offset:32 glc
	s_waitcnt vmcnt(0)
	v_cmp_ne_u64_e32 vcc, v[2:3], v[14:15]
	s_and_saveexec_b64 s[12:13], vcc
	s_cbranch_execz .LBB8_482
; %bb.480:
	s_mov_b64 s[14:15], 0
.LBB8_481:                              ; =>This Inner Loop Header: Depth=1
	s_sleep 1
	global_store_dwordx2 v[4:5], v[2:3], off
	v_mov_b32_e32 v0, s8
	v_mov_b32_e32 v1, s9
	buffer_wbl2
	s_waitcnt vmcnt(0)
	global_atomic_cmpswap_x2 v[0:1], v6, v[0:3], s[2:3] offset:32 glc
	s_waitcnt vmcnt(0)
	v_cmp_eq_u64_e32 vcc, v[0:1], v[2:3]
	s_or_b64 s[14:15], vcc, s[14:15]
	v_pk_mov_b32 v[2:3], v[0:1], v[0:1] op_sel:[0,1]
	s_andn2_b64 exec, exec, s[14:15]
	s_cbranch_execnz .LBB8_481
.LBB8_482:
	s_or_b64 exec, exec, s[12:13]
	v_mov_b32_e32 v3, 0
	global_load_dwordx2 v[0:1], v3, s[2:3] offset:16
	s_mov_b64 s[12:13], exec
	v_mbcnt_lo_u32_b32 v2, s12, 0
	v_mbcnt_hi_u32_b32 v2, s13, v2
	v_cmp_eq_u32_e32 vcc, 0, v2
	s_and_saveexec_b64 s[14:15], vcc
	s_cbranch_execz .LBB8_484
; %bb.483:
	s_bcnt1_i32_b64 s12, s[12:13]
	v_mov_b32_e32 v2, s12
	buffer_wbl2
	s_waitcnt vmcnt(0)
	global_atomic_add_x2 v[0:1], v[2:3], off offset:8
.LBB8_484:
	s_or_b64 exec, exec, s[14:15]
	s_waitcnt vmcnt(0)
	global_load_dwordx2 v[2:3], v[0:1], off offset:16
	s_waitcnt vmcnt(0)
	v_cmp_eq_u64_e32 vcc, 0, v[2:3]
	s_cbranch_vccnz .LBB8_486
; %bb.485:
	global_load_dword v0, v[0:1], off offset:24
	v_mov_b32_e32 v1, 0
	buffer_wbl2
	s_waitcnt vmcnt(0)
	global_store_dwordx2 v[2:3], v[0:1], off
	v_and_b32_e32 v0, 0xffffff, v0
	v_readfirstlane_b32 m0, v0
	s_sendmsg sendmsg(MSG_INTERRUPT)
.LBB8_486:
	s_or_b64 exec, exec, s[10:11]
	s_branch .LBB8_490
.LBB8_487:                              ;   in Loop: Header=BB8_490 Depth=1
	s_or_b64 exec, exec, s[10:11]
	v_readfirstlane_b32 s10, v0
	s_cmp_eq_u32 s10, 0
	s_cbranch_scc1 .LBB8_489
; %bb.488:                              ;   in Loop: Header=BB8_490 Depth=1
	s_sleep 1
	s_cbranch_execnz .LBB8_490
	s_branch .LBB8_492
.LBB8_489:
	s_branch .LBB8_492
.LBB8_490:                              ; =>This Inner Loop Header: Depth=1
	v_mov_b32_e32 v0, 1
	s_and_saveexec_b64 s[10:11], s[0:1]
	s_cbranch_execz .LBB8_487
; %bb.491:                              ;   in Loop: Header=BB8_490 Depth=1
	global_load_dword v0, v[8:9], off offset:20 glc
	s_waitcnt vmcnt(0)
	buffer_invl2
	buffer_wbinvl1_vol
	v_and_b32_e32 v0, 1, v0
	s_branch .LBB8_487
.LBB8_492:
	global_load_dwordx2 v[0:1], v[10:11], off
	s_and_saveexec_b64 s[10:11], s[0:1]
	s_cbranch_execz .LBB8_495
; %bb.493:
	v_mov_b32_e32 v8, 0
	global_load_dwordx2 v[6:7], v8, s[2:3] offset:40
	global_load_dwordx2 v[10:11], v8, s[2:3] offset:24 glc
	global_load_dwordx2 v[12:13], v8, s[2:3]
	v_mov_b32_e32 v3, s9
	s_mov_b64 s[0:1], 0
	s_waitcnt vmcnt(2)
	v_add_co_u32_e32 v5, vcc, 1, v6
	v_addc_co_u32_e32 v9, vcc, 0, v7, vcc
	v_add_co_u32_e32 v2, vcc, s8, v5
	v_addc_co_u32_e32 v3, vcc, v9, v3, vcc
	v_cmp_eq_u64_e32 vcc, 0, v[2:3]
	v_cndmask_b32_e32 v3, v3, v9, vcc
	v_cndmask_b32_e32 v2, v2, v5, vcc
	v_and_b32_e32 v5, v3, v7
	v_and_b32_e32 v6, v2, v6
	v_mul_lo_u32 v5, v5, 24
	v_mul_hi_u32 v7, v6, 24
	v_mul_lo_u32 v6, v6, 24
	v_add_u32_e32 v5, v7, v5
	s_waitcnt vmcnt(0)
	v_add_co_u32_e32 v6, vcc, v12, v6
	v_addc_co_u32_e32 v7, vcc, v13, v5, vcc
	v_mov_b32_e32 v4, v10
	global_store_dwordx2 v[6:7], v[10:11], off
	v_mov_b32_e32 v5, v11
	buffer_wbl2
	s_waitcnt vmcnt(0)
	global_atomic_cmpswap_x2 v[4:5], v8, v[2:5], s[2:3] offset:24 glc
	s_waitcnt vmcnt(0)
	v_cmp_ne_u64_e32 vcc, v[4:5], v[10:11]
	s_and_b64 exec, exec, vcc
	s_cbranch_execz .LBB8_495
.LBB8_494:                              ; =>This Inner Loop Header: Depth=1
	s_sleep 1
	global_store_dwordx2 v[6:7], v[4:5], off
	buffer_wbl2
	s_waitcnt vmcnt(0)
	global_atomic_cmpswap_x2 v[10:11], v8, v[2:5], s[2:3] offset:24 glc
	s_waitcnt vmcnt(0)
	v_cmp_eq_u64_e32 vcc, v[10:11], v[4:5]
	s_or_b64 s[0:1], vcc, s[0:1]
	v_pk_mov_b32 v[4:5], v[10:11], v[10:11] op_sel:[0,1]
	s_andn2_b64 exec, exec, s[0:1]
	s_cbranch_execnz .LBB8_494
.LBB8_495:
	s_or_b64 exec, exec, s[10:11]
	s_and_b64 vcc, exec, s[6:7]
	s_cbranch_vccnz .LBB8_385
.LBB8_496:
                                        ; implicit-def: $vgpr2_vgpr3
	s_cbranch_execz .LBB8_523
; %bb.497:
	v_readfirstlane_b32 s0, v35
	v_cmp_eq_u32_e64 s[0:1], s0, v35
	v_pk_mov_b32 v[8:9], 0, 0
	s_and_saveexec_b64 s[8:9], s[0:1]
	s_cbranch_execz .LBB8_503
; %bb.498:
	s_waitcnt vmcnt(0)
	v_mov_b32_e32 v2, 0
	global_load_dwordx2 v[6:7], v2, s[2:3] offset:24 glc
	s_waitcnt vmcnt(0)
	buffer_invl2
	buffer_wbinvl1_vol
	global_load_dwordx2 v[4:5], v2, s[2:3] offset:40
	global_load_dwordx2 v[8:9], v2, s[2:3]
	s_waitcnt vmcnt(1)
	v_and_b32_e32 v3, v4, v6
	v_and_b32_e32 v4, v5, v7
	v_mul_lo_u32 v4, v4, 24
	v_mul_hi_u32 v5, v3, 24
	v_mul_lo_u32 v3, v3, 24
	v_add_u32_e32 v5, v5, v4
	s_waitcnt vmcnt(0)
	v_add_co_u32_e32 v4, vcc, v8, v3
	v_addc_co_u32_e32 v5, vcc, v9, v5, vcc
	global_load_dwordx2 v[4:5], v[4:5], off glc
	s_waitcnt vmcnt(0)
	global_atomic_cmpswap_x2 v[8:9], v2, v[4:7], s[2:3] offset:24 glc
	s_waitcnt vmcnt(0)
	buffer_invl2
	buffer_wbinvl1_vol
	v_cmp_ne_u64_e32 vcc, v[8:9], v[6:7]
	s_and_saveexec_b64 s[10:11], vcc
	s_cbranch_execz .LBB8_502
; %bb.499:
	s_mov_b64 s[12:13], 0
.LBB8_500:                              ; =>This Inner Loop Header: Depth=1
	s_sleep 1
	global_load_dwordx2 v[4:5], v2, s[2:3] offset:40
	global_load_dwordx2 v[10:11], v2, s[2:3]
	v_pk_mov_b32 v[6:7], v[8:9], v[8:9] op_sel:[0,1]
	s_waitcnt vmcnt(1)
	v_and_b32_e32 v4, v4, v6
	v_and_b32_e32 v3, v5, v7
	s_waitcnt vmcnt(0)
	v_mad_u64_u32 v[4:5], s[14:15], v4, 24, v[10:11]
	v_mov_b32_e32 v8, v5
	v_mad_u64_u32 v[8:9], s[14:15], v3, 24, v[8:9]
	v_mov_b32_e32 v5, v8
	global_load_dwordx2 v[4:5], v[4:5], off glc
	s_waitcnt vmcnt(0)
	global_atomic_cmpswap_x2 v[8:9], v2, v[4:7], s[2:3] offset:24 glc
	s_waitcnt vmcnt(0)
	buffer_invl2
	buffer_wbinvl1_vol
	v_cmp_eq_u64_e32 vcc, v[8:9], v[6:7]
	s_or_b64 s[12:13], vcc, s[12:13]
	s_andn2_b64 exec, exec, s[12:13]
	s_cbranch_execnz .LBB8_500
; %bb.501:
	s_or_b64 exec, exec, s[12:13]
.LBB8_502:
	s_or_b64 exec, exec, s[10:11]
.LBB8_503:
	s_or_b64 exec, exec, s[8:9]
	s_waitcnt vmcnt(0)
	v_mov_b32_e32 v2, 0
	global_load_dwordx2 v[10:11], v2, s[2:3] offset:40
	global_load_dwordx4 v[4:7], v2, s[2:3]
	v_readfirstlane_b32 s8, v8
	v_readfirstlane_b32 s9, v9
	s_mov_b64 s[10:11], exec
	s_waitcnt vmcnt(1)
	v_readfirstlane_b32 s12, v10
	v_readfirstlane_b32 s13, v11
	s_and_b64 s[12:13], s[8:9], s[12:13]
	s_mul_i32 s14, s13, 24
	s_mul_hi_u32 s15, s12, 24
	s_mul_i32 s16, s12, 24
	s_add_i32 s14, s15, s14
	v_mov_b32_e32 v3, s14
	s_waitcnt vmcnt(0)
	v_add_co_u32_e32 v8, vcc, s16, v4
	v_addc_co_u32_e32 v9, vcc, v5, v3, vcc
	s_and_saveexec_b64 s[14:15], s[0:1]
	s_cbranch_execz .LBB8_505
; %bb.504:
	v_pk_mov_b32 v[10:11], s[10:11], s[10:11] op_sel:[0,1]
	v_mov_b32_e32 v12, 2
	v_mov_b32_e32 v13, 1
	global_store_dwordx4 v[8:9], v[10:13], off offset:8
.LBB8_505:
	s_or_b64 exec, exec, s[14:15]
	s_lshl_b64 s[10:11], s[12:13], 12
	v_mov_b32_e32 v3, s11
	v_add_co_u32_e32 v10, vcc, s10, v6
	v_addc_co_u32_e32 v11, vcc, v7, v3, vcc
	s_movk_i32 s10, 0xff1f
	s_mov_b32 s12, 0
	v_and_or_b32 v0, v0, s10, 32
	v_mov_b32_e32 v3, v2
	v_readfirstlane_b32 s10, v10
	v_readfirstlane_b32 s11, v11
	s_mov_b32 s13, s12
	v_add_co_u32_e32 v6, vcc, v10, v34
	s_mov_b32 s14, s12
	s_mov_b32 s15, s12
	s_nop 0
	global_store_dwordx4 v34, v[0:3], s[10:11]
	v_addc_co_u32_e32 v7, vcc, 0, v11, vcc
	v_pk_mov_b32 v[0:1], s[12:13], s[12:13] op_sel:[0,1]
	v_pk_mov_b32 v[2:3], s[14:15], s[14:15] op_sel:[0,1]
	global_store_dwordx4 v34, v[0:3], s[10:11] offset:16
	global_store_dwordx4 v34, v[0:3], s[10:11] offset:32
	;; [unrolled: 1-line block ×3, first 2 shown]
	s_and_saveexec_b64 s[10:11], s[0:1]
	s_cbranch_execz .LBB8_513
; %bb.506:
	v_mov_b32_e32 v10, 0
	global_load_dwordx2 v[14:15], v10, s[2:3] offset:32 glc
	global_load_dwordx2 v[0:1], v10, s[2:3] offset:40
	v_mov_b32_e32 v12, s8
	v_mov_b32_e32 v13, s9
	s_waitcnt vmcnt(0)
	v_readfirstlane_b32 s12, v0
	v_readfirstlane_b32 s13, v1
	s_and_b64 s[12:13], s[12:13], s[8:9]
	s_mul_i32 s13, s13, 24
	s_mul_hi_u32 s14, s12, 24
	s_mul_i32 s12, s12, 24
	s_add_i32 s13, s14, s13
	v_mov_b32_e32 v0, s13
	v_add_co_u32_e32 v4, vcc, s12, v4
	v_addc_co_u32_e32 v5, vcc, v5, v0, vcc
	global_store_dwordx2 v[4:5], v[14:15], off
	buffer_wbl2
	s_waitcnt vmcnt(0)
	global_atomic_cmpswap_x2 v[2:3], v10, v[12:15], s[2:3] offset:32 glc
	s_waitcnt vmcnt(0)
	v_cmp_ne_u64_e32 vcc, v[2:3], v[14:15]
	s_and_saveexec_b64 s[12:13], vcc
	s_cbranch_execz .LBB8_509
; %bb.507:
	s_mov_b64 s[14:15], 0
.LBB8_508:                              ; =>This Inner Loop Header: Depth=1
	s_sleep 1
	global_store_dwordx2 v[4:5], v[2:3], off
	v_mov_b32_e32 v0, s8
	v_mov_b32_e32 v1, s9
	buffer_wbl2
	s_waitcnt vmcnt(0)
	global_atomic_cmpswap_x2 v[0:1], v10, v[0:3], s[2:3] offset:32 glc
	s_waitcnt vmcnt(0)
	v_cmp_eq_u64_e32 vcc, v[0:1], v[2:3]
	s_or_b64 s[14:15], vcc, s[14:15]
	v_pk_mov_b32 v[2:3], v[0:1], v[0:1] op_sel:[0,1]
	s_andn2_b64 exec, exec, s[14:15]
	s_cbranch_execnz .LBB8_508
.LBB8_509:
	s_or_b64 exec, exec, s[12:13]
	v_mov_b32_e32 v3, 0
	global_load_dwordx2 v[0:1], v3, s[2:3] offset:16
	s_mov_b64 s[12:13], exec
	v_mbcnt_lo_u32_b32 v2, s12, 0
	v_mbcnt_hi_u32_b32 v2, s13, v2
	v_cmp_eq_u32_e32 vcc, 0, v2
	s_and_saveexec_b64 s[14:15], vcc
	s_cbranch_execz .LBB8_511
; %bb.510:
	s_bcnt1_i32_b64 s12, s[12:13]
	v_mov_b32_e32 v2, s12
	buffer_wbl2
	s_waitcnt vmcnt(0)
	global_atomic_add_x2 v[0:1], v[2:3], off offset:8
.LBB8_511:
	s_or_b64 exec, exec, s[14:15]
	s_waitcnt vmcnt(0)
	global_load_dwordx2 v[2:3], v[0:1], off offset:16
	s_waitcnt vmcnt(0)
	v_cmp_eq_u64_e32 vcc, 0, v[2:3]
	s_cbranch_vccnz .LBB8_513
; %bb.512:
	global_load_dword v0, v[0:1], off offset:24
	v_mov_b32_e32 v1, 0
	buffer_wbl2
	s_waitcnt vmcnt(0)
	global_store_dwordx2 v[2:3], v[0:1], off
	v_and_b32_e32 v0, 0xffffff, v0
	v_readfirstlane_b32 m0, v0
	s_sendmsg sendmsg(MSG_INTERRUPT)
.LBB8_513:
	s_or_b64 exec, exec, s[10:11]
	s_branch .LBB8_517
.LBB8_514:                              ;   in Loop: Header=BB8_517 Depth=1
	s_or_b64 exec, exec, s[10:11]
	v_readfirstlane_b32 s10, v0
	s_cmp_eq_u32 s10, 0
	s_cbranch_scc1 .LBB8_516
; %bb.515:                              ;   in Loop: Header=BB8_517 Depth=1
	s_sleep 1
	s_cbranch_execnz .LBB8_517
	s_branch .LBB8_519
.LBB8_516:
	s_branch .LBB8_519
.LBB8_517:                              ; =>This Inner Loop Header: Depth=1
	v_mov_b32_e32 v0, 1
	s_and_saveexec_b64 s[10:11], s[0:1]
	s_cbranch_execz .LBB8_514
; %bb.518:                              ;   in Loop: Header=BB8_517 Depth=1
	global_load_dword v0, v[8:9], off offset:20 glc
	s_waitcnt vmcnt(0)
	buffer_invl2
	buffer_wbinvl1_vol
	v_and_b32_e32 v0, 1, v0
	s_branch .LBB8_514
.LBB8_519:
	global_load_dwordx2 v[2:3], v[6:7], off
	s_and_saveexec_b64 s[10:11], s[0:1]
	s_cbranch_execz .LBB8_522
; %bb.520:
	v_mov_b32_e32 v8, 0
	global_load_dwordx2 v[0:1], v8, s[2:3] offset:40
	global_load_dwordx2 v[10:11], v8, s[2:3] offset:24 glc
	global_load_dwordx2 v[12:13], v8, s[2:3]
	v_mov_b32_e32 v5, s9
	s_mov_b64 s[0:1], 0
	s_waitcnt vmcnt(2)
	v_add_co_u32_e32 v7, vcc, 1, v0
	v_addc_co_u32_e32 v9, vcc, 0, v1, vcc
	v_add_co_u32_e32 v4, vcc, s8, v7
	v_addc_co_u32_e32 v5, vcc, v9, v5, vcc
	v_cmp_eq_u64_e32 vcc, 0, v[4:5]
	v_cndmask_b32_e32 v5, v5, v9, vcc
	v_cndmask_b32_e32 v4, v4, v7, vcc
	v_and_b32_e32 v1, v5, v1
	v_and_b32_e32 v0, v4, v0
	v_mul_lo_u32 v1, v1, 24
	v_mul_hi_u32 v7, v0, 24
	v_mul_lo_u32 v0, v0, 24
	v_add_u32_e32 v1, v7, v1
	s_waitcnt vmcnt(0)
	v_add_co_u32_e32 v0, vcc, v12, v0
	v_addc_co_u32_e32 v1, vcc, v13, v1, vcc
	v_mov_b32_e32 v6, v10
	global_store_dwordx2 v[0:1], v[10:11], off
	v_mov_b32_e32 v7, v11
	buffer_wbl2
	s_waitcnt vmcnt(0)
	global_atomic_cmpswap_x2 v[6:7], v8, v[4:7], s[2:3] offset:24 glc
	s_waitcnt vmcnt(0)
	v_cmp_ne_u64_e32 vcc, v[6:7], v[10:11]
	s_and_b64 exec, exec, vcc
	s_cbranch_execz .LBB8_522
.LBB8_521:                              ; =>This Inner Loop Header: Depth=1
	s_sleep 1
	global_store_dwordx2 v[0:1], v[6:7], off
	buffer_wbl2
	s_waitcnt vmcnt(0)
	global_atomic_cmpswap_x2 v[10:11], v8, v[4:7], s[2:3] offset:24 glc
	s_waitcnt vmcnt(0)
	v_cmp_eq_u64_e32 vcc, v[10:11], v[6:7]
	s_or_b64 s[0:1], vcc, s[0:1]
	v_pk_mov_b32 v[6:7], v[10:11], v[10:11] op_sel:[0,1]
	s_andn2_b64 exec, exec, s[0:1]
	s_cbranch_execnz .LBB8_521
.LBB8_522:
	s_or_b64 exec, exec, s[10:11]
.LBB8_523:
	v_readfirstlane_b32 s0, v35
	v_cmp_eq_u32_e64 s[0:1], s0, v35
	s_waitcnt vmcnt(0)
	v_pk_mov_b32 v[0:1], 0, 0
	s_and_saveexec_b64 s[8:9], s[0:1]
	s_cbranch_execz .LBB8_529
; %bb.524:
	v_mov_b32_e32 v4, 0
	global_load_dwordx2 v[8:9], v4, s[2:3] offset:24 glc
	s_waitcnt vmcnt(0)
	buffer_invl2
	buffer_wbinvl1_vol
	global_load_dwordx2 v[0:1], v4, s[2:3] offset:40
	global_load_dwordx2 v[6:7], v4, s[2:3]
	s_waitcnt vmcnt(1)
	v_and_b32_e32 v0, v0, v8
	v_and_b32_e32 v1, v1, v9
	v_mul_lo_u32 v1, v1, 24
	v_mul_hi_u32 v5, v0, 24
	v_mul_lo_u32 v0, v0, 24
	v_add_u32_e32 v1, v5, v1
	s_waitcnt vmcnt(0)
	v_add_co_u32_e32 v0, vcc, v6, v0
	v_addc_co_u32_e32 v1, vcc, v7, v1, vcc
	global_load_dwordx2 v[6:7], v[0:1], off glc
	s_waitcnt vmcnt(0)
	global_atomic_cmpswap_x2 v[0:1], v4, v[6:9], s[2:3] offset:24 glc
	s_waitcnt vmcnt(0)
	buffer_invl2
	buffer_wbinvl1_vol
	v_cmp_ne_u64_e32 vcc, v[0:1], v[8:9]
	s_and_saveexec_b64 s[10:11], vcc
	s_cbranch_execz .LBB8_528
; %bb.525:
	s_mov_b64 s[12:13], 0
.LBB8_526:                              ; =>This Inner Loop Header: Depth=1
	s_sleep 1
	global_load_dwordx2 v[6:7], v4, s[2:3] offset:40
	global_load_dwordx2 v[10:11], v4, s[2:3]
	v_pk_mov_b32 v[8:9], v[0:1], v[0:1] op_sel:[0,1]
	s_waitcnt vmcnt(1)
	v_and_b32_e32 v0, v6, v8
	s_waitcnt vmcnt(0)
	v_mad_u64_u32 v[0:1], s[14:15], v0, 24, v[10:11]
	v_and_b32_e32 v5, v7, v9
	v_mov_b32_e32 v6, v1
	v_mad_u64_u32 v[6:7], s[14:15], v5, 24, v[6:7]
	v_mov_b32_e32 v1, v6
	global_load_dwordx2 v[6:7], v[0:1], off glc
	s_waitcnt vmcnt(0)
	global_atomic_cmpswap_x2 v[0:1], v4, v[6:9], s[2:3] offset:24 glc
	s_waitcnt vmcnt(0)
	buffer_invl2
	buffer_wbinvl1_vol
	v_cmp_eq_u64_e32 vcc, v[0:1], v[8:9]
	s_or_b64 s[12:13], vcc, s[12:13]
	s_andn2_b64 exec, exec, s[12:13]
	s_cbranch_execnz .LBB8_526
; %bb.527:
	s_or_b64 exec, exec, s[12:13]
.LBB8_528:
	s_or_b64 exec, exec, s[10:11]
.LBB8_529:
	s_or_b64 exec, exec, s[8:9]
	v_mov_b32_e32 v5, 0
	global_load_dwordx2 v[10:11], v5, s[2:3] offset:40
	global_load_dwordx4 v[6:9], v5, s[2:3]
	v_readfirstlane_b32 s8, v0
	v_readfirstlane_b32 s9, v1
	s_mov_b64 s[10:11], exec
	s_waitcnt vmcnt(1)
	v_readfirstlane_b32 s12, v10
	v_readfirstlane_b32 s13, v11
	s_and_b64 s[12:13], s[8:9], s[12:13]
	s_mul_i32 s14, s13, 24
	s_mul_hi_u32 s15, s12, 24
	s_mul_i32 s16, s12, 24
	s_add_i32 s14, s15, s14
	v_mov_b32_e32 v0, s14
	s_waitcnt vmcnt(0)
	v_add_co_u32_e32 v10, vcc, s16, v6
	v_addc_co_u32_e32 v11, vcc, v7, v0, vcc
	s_and_saveexec_b64 s[14:15], s[0:1]
	s_cbranch_execz .LBB8_531
; %bb.530:
	v_pk_mov_b32 v[12:13], s[10:11], s[10:11] op_sel:[0,1]
	v_mov_b32_e32 v14, 2
	v_mov_b32_e32 v15, 1
	global_store_dwordx4 v[10:11], v[12:15], off offset:8
.LBB8_531:
	s_or_b64 exec, exec, s[14:15]
	s_lshl_b64 s[10:11], s[12:13], 12
	v_mov_b32_e32 v1, s11
	v_add_co_u32_e32 v0, vcc, s10, v8
	v_addc_co_u32_e32 v1, vcc, v9, v1, vcc
	s_movk_i32 s10, 0xff1d
	s_mov_b32 s12, 0
	v_and_or_b32 v2, v2, s10, 34
	v_mov_b32_e32 v4, 1
	v_readfirstlane_b32 s10, v0
	v_readfirstlane_b32 s11, v1
	s_mov_b32 s13, s12
	s_mov_b32 s14, s12
	s_mov_b32 s15, s12
	s_nop 1
	global_store_dwordx4 v34, v[2:5], s[10:11]
	v_pk_mov_b32 v[0:1], s[12:13], s[12:13] op_sel:[0,1]
	v_pk_mov_b32 v[2:3], s[14:15], s[14:15] op_sel:[0,1]
	global_store_dwordx4 v34, v[0:3], s[10:11] offset:16
	global_store_dwordx4 v34, v[0:3], s[10:11] offset:32
	;; [unrolled: 1-line block ×3, first 2 shown]
	s_and_saveexec_b64 s[10:11], s[0:1]
	s_cbranch_execz .LBB8_539
; %bb.532:
	v_mov_b32_e32 v8, 0
	global_load_dwordx2 v[14:15], v8, s[2:3] offset:32 glc
	global_load_dwordx2 v[0:1], v8, s[2:3] offset:40
	v_mov_b32_e32 v12, s8
	v_mov_b32_e32 v13, s9
	s_waitcnt vmcnt(0)
	v_readfirstlane_b32 s12, v0
	v_readfirstlane_b32 s13, v1
	s_and_b64 s[12:13], s[12:13], s[8:9]
	s_mul_i32 s13, s13, 24
	s_mul_hi_u32 s14, s12, 24
	s_mul_i32 s12, s12, 24
	s_add_i32 s13, s14, s13
	v_mov_b32_e32 v0, s13
	v_add_co_u32_e32 v4, vcc, s12, v6
	v_addc_co_u32_e32 v5, vcc, v7, v0, vcc
	global_store_dwordx2 v[4:5], v[14:15], off
	buffer_wbl2
	s_waitcnt vmcnt(0)
	global_atomic_cmpswap_x2 v[2:3], v8, v[12:15], s[2:3] offset:32 glc
	s_waitcnt vmcnt(0)
	v_cmp_ne_u64_e32 vcc, v[2:3], v[14:15]
	s_and_saveexec_b64 s[12:13], vcc
	s_cbranch_execz .LBB8_535
; %bb.533:
	s_mov_b64 s[14:15], 0
.LBB8_534:                              ; =>This Inner Loop Header: Depth=1
	s_sleep 1
	global_store_dwordx2 v[4:5], v[2:3], off
	v_mov_b32_e32 v0, s8
	v_mov_b32_e32 v1, s9
	buffer_wbl2
	s_waitcnt vmcnt(0)
	global_atomic_cmpswap_x2 v[0:1], v8, v[0:3], s[2:3] offset:32 glc
	s_waitcnt vmcnt(0)
	v_cmp_eq_u64_e32 vcc, v[0:1], v[2:3]
	s_or_b64 s[14:15], vcc, s[14:15]
	v_pk_mov_b32 v[2:3], v[0:1], v[0:1] op_sel:[0,1]
	s_andn2_b64 exec, exec, s[14:15]
	s_cbranch_execnz .LBB8_534
.LBB8_535:
	s_or_b64 exec, exec, s[12:13]
	v_mov_b32_e32 v3, 0
	global_load_dwordx2 v[0:1], v3, s[2:3] offset:16
	s_mov_b64 s[12:13], exec
	v_mbcnt_lo_u32_b32 v2, s12, 0
	v_mbcnt_hi_u32_b32 v2, s13, v2
	v_cmp_eq_u32_e32 vcc, 0, v2
	s_and_saveexec_b64 s[14:15], vcc
	s_cbranch_execz .LBB8_537
; %bb.536:
	s_bcnt1_i32_b64 s12, s[12:13]
	v_mov_b32_e32 v2, s12
	buffer_wbl2
	s_waitcnt vmcnt(0)
	global_atomic_add_x2 v[0:1], v[2:3], off offset:8
.LBB8_537:
	s_or_b64 exec, exec, s[14:15]
	s_waitcnt vmcnt(0)
	global_load_dwordx2 v[2:3], v[0:1], off offset:16
	s_waitcnt vmcnt(0)
	v_cmp_eq_u64_e32 vcc, 0, v[2:3]
	s_cbranch_vccnz .LBB8_539
; %bb.538:
	global_load_dword v0, v[0:1], off offset:24
	v_mov_b32_e32 v1, 0
	buffer_wbl2
	s_waitcnt vmcnt(0)
	global_store_dwordx2 v[2:3], v[0:1], off
	v_and_b32_e32 v0, 0xffffff, v0
	v_readfirstlane_b32 m0, v0
	s_sendmsg sendmsg(MSG_INTERRUPT)
.LBB8_539:
	s_or_b64 exec, exec, s[10:11]
	s_branch .LBB8_543
.LBB8_540:                              ;   in Loop: Header=BB8_543 Depth=1
	s_or_b64 exec, exec, s[10:11]
	v_readfirstlane_b32 s10, v0
	s_cmp_eq_u32 s10, 0
	s_cbranch_scc1 .LBB8_542
; %bb.541:                              ;   in Loop: Header=BB8_543 Depth=1
	s_sleep 1
	s_cbranch_execnz .LBB8_543
	s_branch .LBB8_545
.LBB8_542:
	s_branch .LBB8_545
.LBB8_543:                              ; =>This Inner Loop Header: Depth=1
	v_mov_b32_e32 v0, 1
	s_and_saveexec_b64 s[10:11], s[0:1]
	s_cbranch_execz .LBB8_540
; %bb.544:                              ;   in Loop: Header=BB8_543 Depth=1
	global_load_dword v0, v[10:11], off offset:20 glc
	s_waitcnt vmcnt(0)
	buffer_invl2
	buffer_wbinvl1_vol
	v_and_b32_e32 v0, 1, v0
	s_branch .LBB8_540
.LBB8_545:
	s_and_saveexec_b64 s[10:11], s[0:1]
	s_cbranch_execz .LBB8_548
; %bb.546:
	v_mov_b32_e32 v6, 0
	global_load_dwordx2 v[4:5], v6, s[2:3] offset:40
	global_load_dwordx2 v[8:9], v6, s[2:3] offset:24 glc
	global_load_dwordx2 v[10:11], v6, s[2:3]
	v_mov_b32_e32 v1, s9
	s_mov_b64 s[0:1], 0
	s_waitcnt vmcnt(2)
	v_add_co_u32_e32 v3, vcc, 1, v4
	v_addc_co_u32_e32 v7, vcc, 0, v5, vcc
	v_add_co_u32_e32 v0, vcc, s8, v3
	v_addc_co_u32_e32 v1, vcc, v7, v1, vcc
	v_cmp_eq_u64_e32 vcc, 0, v[0:1]
	v_cndmask_b32_e32 v1, v1, v7, vcc
	v_cndmask_b32_e32 v0, v0, v3, vcc
	v_and_b32_e32 v3, v1, v5
	v_and_b32_e32 v4, v0, v4
	v_mul_lo_u32 v3, v3, 24
	v_mul_hi_u32 v5, v4, 24
	v_mul_lo_u32 v4, v4, 24
	v_add_u32_e32 v3, v5, v3
	s_waitcnt vmcnt(0)
	v_add_co_u32_e32 v4, vcc, v10, v4
	v_addc_co_u32_e32 v5, vcc, v11, v3, vcc
	v_mov_b32_e32 v2, v8
	global_store_dwordx2 v[4:5], v[8:9], off
	v_mov_b32_e32 v3, v9
	buffer_wbl2
	s_waitcnt vmcnt(0)
	global_atomic_cmpswap_x2 v[2:3], v6, v[0:3], s[2:3] offset:24 glc
	s_waitcnt vmcnt(0)
	v_cmp_ne_u64_e32 vcc, v[2:3], v[8:9]
	s_and_b64 exec, exec, vcc
	s_cbranch_execz .LBB8_548
.LBB8_547:                              ; =>This Inner Loop Header: Depth=1
	s_sleep 1
	global_store_dwordx2 v[4:5], v[2:3], off
	buffer_wbl2
	s_waitcnt vmcnt(0)
	global_atomic_cmpswap_x2 v[8:9], v6, v[0:3], s[2:3] offset:24 glc
	s_waitcnt vmcnt(0)
	v_cmp_eq_u64_e32 vcc, v[8:9], v[2:3]
	s_or_b64 s[0:1], vcc, s[0:1]
	v_pk_mov_b32 v[2:3], v[8:9], v[8:9] op_sel:[0,1]
	s_andn2_b64 exec, exec, s[0:1]
	s_cbranch_execnz .LBB8_547
.LBB8_548:
	s_or_b64 exec, exec, s[10:11]
	v_readfirstlane_b32 s0, v35
	v_cmp_eq_u32_e64 s[0:1], s0, v35
	v_pk_mov_b32 v[6:7], 0, 0
	s_waitcnt lgkmcnt(0)
	s_barrier
	s_and_saveexec_b64 s[8:9], s[0:1]
	s_cbranch_execz .LBB8_554
; %bb.549:
	v_mov_b32_e32 v0, 0
	global_load_dwordx2 v[4:5], v0, s[2:3] offset:24 glc
	s_waitcnt vmcnt(0)
	buffer_invl2
	buffer_wbinvl1_vol
	global_load_dwordx2 v[2:3], v0, s[2:3] offset:40
	global_load_dwordx2 v[6:7], v0, s[2:3]
	s_waitcnt vmcnt(1)
	v_and_b32_e32 v1, v2, v4
	v_and_b32_e32 v2, v3, v5
	v_mul_lo_u32 v2, v2, 24
	v_mul_hi_u32 v3, v1, 24
	v_mul_lo_u32 v1, v1, 24
	v_add_u32_e32 v3, v3, v2
	s_waitcnt vmcnt(0)
	v_add_co_u32_e32 v2, vcc, v6, v1
	v_addc_co_u32_e32 v3, vcc, v7, v3, vcc
	global_load_dwordx2 v[2:3], v[2:3], off glc
	s_waitcnt vmcnt(0)
	global_atomic_cmpswap_x2 v[6:7], v0, v[2:5], s[2:3] offset:24 glc
	s_waitcnt vmcnt(0)
	buffer_invl2
	buffer_wbinvl1_vol
	v_cmp_ne_u64_e32 vcc, v[6:7], v[4:5]
	s_and_saveexec_b64 s[10:11], vcc
	s_cbranch_execz .LBB8_553
; %bb.550:
	s_mov_b64 s[12:13], 0
.LBB8_551:                              ; =>This Inner Loop Header: Depth=1
	s_sleep 1
	global_load_dwordx2 v[2:3], v0, s[2:3] offset:40
	global_load_dwordx2 v[8:9], v0, s[2:3]
	v_pk_mov_b32 v[4:5], v[6:7], v[6:7] op_sel:[0,1]
	s_waitcnt vmcnt(1)
	v_and_b32_e32 v2, v2, v4
	v_and_b32_e32 v1, v3, v5
	s_waitcnt vmcnt(0)
	v_mad_u64_u32 v[2:3], s[14:15], v2, 24, v[8:9]
	v_mov_b32_e32 v6, v3
	v_mad_u64_u32 v[6:7], s[14:15], v1, 24, v[6:7]
	v_mov_b32_e32 v3, v6
	global_load_dwordx2 v[2:3], v[2:3], off glc
	s_waitcnt vmcnt(0)
	global_atomic_cmpswap_x2 v[6:7], v0, v[2:5], s[2:3] offset:24 glc
	s_waitcnt vmcnt(0)
	buffer_invl2
	buffer_wbinvl1_vol
	v_cmp_eq_u64_e32 vcc, v[6:7], v[4:5]
	s_or_b64 s[12:13], vcc, s[12:13]
	s_andn2_b64 exec, exec, s[12:13]
	s_cbranch_execnz .LBB8_551
; %bb.552:
	s_or_b64 exec, exec, s[12:13]
.LBB8_553:
	s_or_b64 exec, exec, s[10:11]
.LBB8_554:
	s_or_b64 exec, exec, s[8:9]
	v_mov_b32_e32 v5, 0
	global_load_dwordx2 v[8:9], v5, s[2:3] offset:40
	global_load_dwordx4 v[0:3], v5, s[2:3]
	v_readfirstlane_b32 s8, v6
	v_readfirstlane_b32 s9, v7
	s_mov_b64 s[10:11], exec
	s_waitcnt vmcnt(1)
	v_readfirstlane_b32 s12, v8
	v_readfirstlane_b32 s13, v9
	s_and_b64 s[12:13], s[8:9], s[12:13]
	s_mul_i32 s14, s13, 24
	s_mul_hi_u32 s15, s12, 24
	s_mul_i32 s16, s12, 24
	s_add_i32 s14, s15, s14
	v_mov_b32_e32 v4, s14
	s_waitcnt vmcnt(0)
	v_add_co_u32_e32 v8, vcc, s16, v0
	v_addc_co_u32_e32 v9, vcc, v1, v4, vcc
	s_and_saveexec_b64 s[14:15], s[0:1]
	s_cbranch_execz .LBB8_556
; %bb.555:
	v_pk_mov_b32 v[10:11], s[10:11], s[10:11] op_sel:[0,1]
	v_mov_b32_e32 v12, 2
	v_mov_b32_e32 v13, 1
	global_store_dwordx4 v[8:9], v[10:13], off offset:8
.LBB8_556:
	s_or_b64 exec, exec, s[14:15]
	s_lshl_b64 s[10:11], s[12:13], 12
	v_mov_b32_e32 v4, s11
	v_add_co_u32_e32 v2, vcc, s10, v2
	v_addc_co_u32_e32 v3, vcc, v3, v4, vcc
	s_mov_b32 s12, 0
	v_add_co_u32_e32 v10, vcc, v2, v34
	v_mov_b32_e32 v4, 33
	v_mov_b32_e32 v6, v5
	;; [unrolled: 1-line block ×3, first 2 shown]
	v_readfirstlane_b32 s10, v2
	v_readfirstlane_b32 s11, v3
	s_mov_b32 s13, s12
	v_addc_co_u32_e32 v11, vcc, 0, v3, vcc
	s_mov_b32 s14, s12
	s_mov_b32 s15, s12
	s_nop 0
	global_store_dwordx4 v34, v[4:7], s[10:11]
	v_pk_mov_b32 v[2:3], s[12:13], s[12:13] op_sel:[0,1]
	v_pk_mov_b32 v[4:5], s[14:15], s[14:15] op_sel:[0,1]
	global_store_dwordx4 v34, v[2:5], s[10:11] offset:16
	global_store_dwordx4 v34, v[2:5], s[10:11] offset:32
	;; [unrolled: 1-line block ×3, first 2 shown]
	s_and_saveexec_b64 s[10:11], s[0:1]
	s_cbranch_execz .LBB8_564
; %bb.557:
	v_mov_b32_e32 v6, 0
	global_load_dwordx2 v[14:15], v6, s[2:3] offset:32 glc
	global_load_dwordx2 v[2:3], v6, s[2:3] offset:40
	v_mov_b32_e32 v12, s8
	v_mov_b32_e32 v13, s9
	s_waitcnt vmcnt(0)
	v_readfirstlane_b32 s12, v2
	v_readfirstlane_b32 s13, v3
	s_and_b64 s[12:13], s[12:13], s[8:9]
	s_mul_i32 s13, s13, 24
	s_mul_hi_u32 s14, s12, 24
	s_mul_i32 s12, s12, 24
	s_add_i32 s13, s14, s13
	v_mov_b32_e32 v2, s13
	v_add_co_u32_e32 v4, vcc, s12, v0
	v_addc_co_u32_e32 v5, vcc, v1, v2, vcc
	global_store_dwordx2 v[4:5], v[14:15], off
	buffer_wbl2
	s_waitcnt vmcnt(0)
	global_atomic_cmpswap_x2 v[2:3], v6, v[12:15], s[2:3] offset:32 glc
	s_waitcnt vmcnt(0)
	v_cmp_ne_u64_e32 vcc, v[2:3], v[14:15]
	s_and_saveexec_b64 s[12:13], vcc
	s_cbranch_execz .LBB8_560
; %bb.558:
	s_mov_b64 s[14:15], 0
.LBB8_559:                              ; =>This Inner Loop Header: Depth=1
	s_sleep 1
	global_store_dwordx2 v[4:5], v[2:3], off
	v_mov_b32_e32 v0, s8
	v_mov_b32_e32 v1, s9
	buffer_wbl2
	s_waitcnt vmcnt(0)
	global_atomic_cmpswap_x2 v[0:1], v6, v[0:3], s[2:3] offset:32 glc
	s_waitcnt vmcnt(0)
	v_cmp_eq_u64_e32 vcc, v[0:1], v[2:3]
	s_or_b64 s[14:15], vcc, s[14:15]
	v_pk_mov_b32 v[2:3], v[0:1], v[0:1] op_sel:[0,1]
	s_andn2_b64 exec, exec, s[14:15]
	s_cbranch_execnz .LBB8_559
.LBB8_560:
	s_or_b64 exec, exec, s[12:13]
	v_mov_b32_e32 v3, 0
	global_load_dwordx2 v[0:1], v3, s[2:3] offset:16
	s_mov_b64 s[12:13], exec
	v_mbcnt_lo_u32_b32 v2, s12, 0
	v_mbcnt_hi_u32_b32 v2, s13, v2
	v_cmp_eq_u32_e32 vcc, 0, v2
	s_and_saveexec_b64 s[14:15], vcc
	s_cbranch_execz .LBB8_562
; %bb.561:
	s_bcnt1_i32_b64 s12, s[12:13]
	v_mov_b32_e32 v2, s12
	buffer_wbl2
	s_waitcnt vmcnt(0)
	global_atomic_add_x2 v[0:1], v[2:3], off offset:8
.LBB8_562:
	s_or_b64 exec, exec, s[14:15]
	s_waitcnt vmcnt(0)
	global_load_dwordx2 v[2:3], v[0:1], off offset:16
	s_waitcnt vmcnt(0)
	v_cmp_eq_u64_e32 vcc, 0, v[2:3]
	s_cbranch_vccnz .LBB8_564
; %bb.563:
	global_load_dword v0, v[0:1], off offset:24
	v_mov_b32_e32 v1, 0
	buffer_wbl2
	s_waitcnt vmcnt(0)
	global_store_dwordx2 v[2:3], v[0:1], off
	v_and_b32_e32 v0, 0xffffff, v0
	v_readfirstlane_b32 m0, v0
	s_sendmsg sendmsg(MSG_INTERRUPT)
.LBB8_564:
	s_or_b64 exec, exec, s[10:11]
	s_branch .LBB8_568
.LBB8_565:                              ;   in Loop: Header=BB8_568 Depth=1
	s_or_b64 exec, exec, s[10:11]
	v_readfirstlane_b32 s10, v0
	s_cmp_eq_u32 s10, 0
	s_cbranch_scc1 .LBB8_567
; %bb.566:                              ;   in Loop: Header=BB8_568 Depth=1
	s_sleep 1
	s_cbranch_execnz .LBB8_568
	s_branch .LBB8_570
.LBB8_567:
	s_branch .LBB8_570
.LBB8_568:                              ; =>This Inner Loop Header: Depth=1
	v_mov_b32_e32 v0, 1
	s_and_saveexec_b64 s[10:11], s[0:1]
	s_cbranch_execz .LBB8_565
; %bb.569:                              ;   in Loop: Header=BB8_568 Depth=1
	global_load_dword v0, v[8:9], off offset:20 glc
	s_waitcnt vmcnt(0)
	buffer_invl2
	buffer_wbinvl1_vol
	v_and_b32_e32 v0, 1, v0
	s_branch .LBB8_565
.LBB8_570:
	global_load_dwordx2 v[4:5], v[10:11], off
	s_and_saveexec_b64 s[10:11], s[0:1]
	s_cbranch_execz .LBB8_573
; %bb.571:
	v_mov_b32_e32 v8, 0
	global_load_dwordx2 v[6:7], v8, s[2:3] offset:40
	global_load_dwordx2 v[10:11], v8, s[2:3] offset:24 glc
	global_load_dwordx2 v[12:13], v8, s[2:3]
	v_mov_b32_e32 v1, s9
	s_mov_b64 s[0:1], 0
	s_waitcnt vmcnt(2)
	v_add_co_u32_e32 v3, vcc, 1, v6
	v_addc_co_u32_e32 v9, vcc, 0, v7, vcc
	v_add_co_u32_e32 v0, vcc, s8, v3
	v_addc_co_u32_e32 v1, vcc, v9, v1, vcc
	v_cmp_eq_u64_e32 vcc, 0, v[0:1]
	v_cndmask_b32_e32 v1, v1, v9, vcc
	v_cndmask_b32_e32 v0, v0, v3, vcc
	v_and_b32_e32 v3, v1, v7
	v_and_b32_e32 v6, v0, v6
	v_mul_lo_u32 v3, v3, 24
	v_mul_hi_u32 v7, v6, 24
	v_mul_lo_u32 v6, v6, 24
	v_add_u32_e32 v3, v7, v3
	s_waitcnt vmcnt(0)
	v_add_co_u32_e32 v6, vcc, v12, v6
	v_addc_co_u32_e32 v7, vcc, v13, v3, vcc
	v_mov_b32_e32 v2, v10
	global_store_dwordx2 v[6:7], v[10:11], off
	v_mov_b32_e32 v3, v11
	buffer_wbl2
	s_waitcnt vmcnt(0)
	global_atomic_cmpswap_x2 v[2:3], v8, v[0:3], s[2:3] offset:24 glc
	s_waitcnt vmcnt(0)
	v_cmp_ne_u64_e32 vcc, v[2:3], v[10:11]
	s_and_b64 exec, exec, vcc
	s_cbranch_execz .LBB8_573
.LBB8_572:                              ; =>This Inner Loop Header: Depth=1
	s_sleep 1
	global_store_dwordx2 v[6:7], v[2:3], off
	buffer_wbl2
	s_waitcnt vmcnt(0)
	global_atomic_cmpswap_x2 v[10:11], v8, v[0:3], s[2:3] offset:24 glc
	s_waitcnt vmcnt(0)
	v_cmp_eq_u64_e32 vcc, v[10:11], v[2:3]
	s_or_b64 s[0:1], vcc, s[0:1]
	v_pk_mov_b32 v[2:3], v[10:11], v[10:11] op_sel:[0,1]
	s_andn2_b64 exec, exec, s[0:1]
	s_cbranch_execnz .LBB8_572
.LBB8_573:
	s_or_b64 exec, exec, s[10:11]
	s_and_b64 vcc, exec, s[4:5]
	s_cbranch_vccz .LBB8_743
; %bb.574:
	s_waitcnt vmcnt(0)
	v_and_b32_e32 v26, 2, v4
	v_mov_b32_e32 v29, 0
	v_and_b32_e32 v0, -3, v4
	v_mov_b32_e32 v1, v5
	s_mov_b64 s[8:9], 6
	v_mov_b32_e32 v8, 2
	v_mov_b32_e32 v9, 1
	s_getpc_b64 s[4:5]
	s_add_u32 s4, s4, .str.7@rel32@lo+4
	s_addc_u32 s5, s5, .str.7@rel32@hi+12
	s_branch .LBB8_576
.LBB8_575:                              ;   in Loop: Header=BB8_576 Depth=1
	s_or_b64 exec, exec, s[14:15]
	s_sub_u32 s8, s8, s10
	s_subb_u32 s9, s9, s11
	s_add_u32 s4, s4, s10
	s_addc_u32 s5, s5, s11
	s_cmp_lg_u64 s[8:9], 0
	s_cbranch_scc0 .LBB8_657
.LBB8_576:                              ; =>This Loop Header: Depth=1
                                        ;     Child Loop BB8_579 Depth 2
                                        ;     Child Loop BB8_586 Depth 2
	;; [unrolled: 1-line block ×11, first 2 shown]
	v_cmp_lt_u64_e64 s[0:1], s[8:9], 56
	s_and_b64 s[0:1], s[0:1], exec
	v_cmp_gt_u64_e64 s[0:1], s[8:9], 7
	s_cselect_b32 s11, s9, 0
	s_cselect_b32 s10, s8, 56
	s_and_b64 vcc, exec, s[0:1]
	s_cbranch_vccnz .LBB8_581
; %bb.577:                              ;   in Loop: Header=BB8_576 Depth=1
	s_mov_b64 s[0:1], 0
	s_cmp_eq_u64 s[8:9], 0
	s_waitcnt vmcnt(0)
	v_pk_mov_b32 v[2:3], 0, 0
	s_cbranch_scc1 .LBB8_580
; %bb.578:                              ;   in Loop: Header=BB8_576 Depth=1
	s_lshl_b64 s[12:13], s[10:11], 3
	s_mov_b64 s[14:15], 0
	v_pk_mov_b32 v[2:3], 0, 0
	s_mov_b64 s[16:17], s[4:5]
.LBB8_579:                              ;   Parent Loop BB8_576 Depth=1
                                        ; =>  This Inner Loop Header: Depth=2
	global_load_ubyte v6, v29, s[16:17]
	s_waitcnt vmcnt(0)
	v_and_b32_e32 v28, 0xffff, v6
	v_lshlrev_b64 v[6:7], s14, v[28:29]
	s_add_u32 s14, s14, 8
	s_addc_u32 s15, s15, 0
	s_add_u32 s16, s16, 1
	s_addc_u32 s17, s17, 0
	v_or_b32_e32 v2, v6, v2
	s_cmp_lg_u32 s12, s14
	v_or_b32_e32 v3, v7, v3
	s_cbranch_scc1 .LBB8_579
.LBB8_580:                              ;   in Loop: Header=BB8_576 Depth=1
	s_mov_b32 s16, 0
	s_andn2_b64 vcc, exec, s[0:1]
	s_mov_b64 s[0:1], s[4:5]
	s_cbranch_vccz .LBB8_582
	s_branch .LBB8_583
.LBB8_581:                              ;   in Loop: Header=BB8_576 Depth=1
                                        ; implicit-def: $vgpr2_vgpr3
                                        ; implicit-def: $sgpr16
	s_mov_b64 s[0:1], s[4:5]
.LBB8_582:                              ;   in Loop: Header=BB8_576 Depth=1
	global_load_dwordx2 v[2:3], v29, s[4:5]
	s_add_i32 s16, s10, -8
	s_add_u32 s0, s4, 8
	s_addc_u32 s1, s5, 0
.LBB8_583:                              ;   in Loop: Header=BB8_576 Depth=1
	s_cmp_gt_u32 s16, 7
	s_cbranch_scc1 .LBB8_587
; %bb.584:                              ;   in Loop: Header=BB8_576 Depth=1
	s_cmp_eq_u32 s16, 0
	s_cbranch_scc1 .LBB8_588
; %bb.585:                              ;   in Loop: Header=BB8_576 Depth=1
	s_mov_b64 s[12:13], 0
	v_pk_mov_b32 v[10:11], 0, 0
	s_mov_b64 s[14:15], 0
.LBB8_586:                              ;   Parent Loop BB8_576 Depth=1
                                        ; =>  This Inner Loop Header: Depth=2
	s_add_u32 s18, s0, s14
	s_addc_u32 s19, s1, s15
	global_load_ubyte v6, v29, s[18:19]
	s_add_u32 s14, s14, 1
	s_addc_u32 s15, s15, 0
	s_waitcnt vmcnt(0)
	v_and_b32_e32 v28, 0xffff, v6
	v_lshlrev_b64 v[6:7], s12, v[28:29]
	s_add_u32 s12, s12, 8
	s_addc_u32 s13, s13, 0
	v_or_b32_e32 v10, v6, v10
	s_cmp_lg_u32 s16, s14
	v_or_b32_e32 v11, v7, v11
	s_cbranch_scc1 .LBB8_586
	s_branch .LBB8_589
.LBB8_587:                              ;   in Loop: Header=BB8_576 Depth=1
                                        ; implicit-def: $vgpr10_vgpr11
                                        ; implicit-def: $sgpr17
	s_branch .LBB8_590
.LBB8_588:                              ;   in Loop: Header=BB8_576 Depth=1
	v_pk_mov_b32 v[10:11], 0, 0
.LBB8_589:                              ;   in Loop: Header=BB8_576 Depth=1
	s_mov_b32 s17, 0
	s_cbranch_execnz .LBB8_591
.LBB8_590:                              ;   in Loop: Header=BB8_576 Depth=1
	global_load_dwordx2 v[10:11], v29, s[0:1]
	s_add_i32 s17, s16, -8
	s_add_u32 s0, s0, 8
	s_addc_u32 s1, s1, 0
.LBB8_591:                              ;   in Loop: Header=BB8_576 Depth=1
	s_cmp_gt_u32 s17, 7
	s_cbranch_scc1 .LBB8_595
; %bb.592:                              ;   in Loop: Header=BB8_576 Depth=1
	s_cmp_eq_u32 s17, 0
	s_cbranch_scc1 .LBB8_596
; %bb.593:                              ;   in Loop: Header=BB8_576 Depth=1
	s_mov_b64 s[12:13], 0
	v_pk_mov_b32 v[12:13], 0, 0
	s_mov_b64 s[14:15], 0
.LBB8_594:                              ;   Parent Loop BB8_576 Depth=1
                                        ; =>  This Inner Loop Header: Depth=2
	s_add_u32 s18, s0, s14
	s_addc_u32 s19, s1, s15
	global_load_ubyte v6, v29, s[18:19]
	s_add_u32 s14, s14, 1
	s_addc_u32 s15, s15, 0
	s_waitcnt vmcnt(0)
	v_and_b32_e32 v28, 0xffff, v6
	v_lshlrev_b64 v[6:7], s12, v[28:29]
	s_add_u32 s12, s12, 8
	s_addc_u32 s13, s13, 0
	v_or_b32_e32 v12, v6, v12
	s_cmp_lg_u32 s17, s14
	v_or_b32_e32 v13, v7, v13
	s_cbranch_scc1 .LBB8_594
	s_branch .LBB8_597
.LBB8_595:                              ;   in Loop: Header=BB8_576 Depth=1
                                        ; implicit-def: $sgpr16
	s_branch .LBB8_598
.LBB8_596:                              ;   in Loop: Header=BB8_576 Depth=1
	v_pk_mov_b32 v[12:13], 0, 0
.LBB8_597:                              ;   in Loop: Header=BB8_576 Depth=1
	s_mov_b32 s16, 0
	s_cbranch_execnz .LBB8_599
.LBB8_598:                              ;   in Loop: Header=BB8_576 Depth=1
	global_load_dwordx2 v[12:13], v29, s[0:1]
	s_add_i32 s16, s17, -8
	s_add_u32 s0, s0, 8
	s_addc_u32 s1, s1, 0
.LBB8_599:                              ;   in Loop: Header=BB8_576 Depth=1
	s_cmp_gt_u32 s16, 7
	s_cbranch_scc1 .LBB8_603
; %bb.600:                              ;   in Loop: Header=BB8_576 Depth=1
	s_cmp_eq_u32 s16, 0
	s_cbranch_scc1 .LBB8_604
; %bb.601:                              ;   in Loop: Header=BB8_576 Depth=1
	s_mov_b64 s[12:13], 0
	v_pk_mov_b32 v[14:15], 0, 0
	s_mov_b64 s[14:15], 0
.LBB8_602:                              ;   Parent Loop BB8_576 Depth=1
                                        ; =>  This Inner Loop Header: Depth=2
	s_add_u32 s18, s0, s14
	s_addc_u32 s19, s1, s15
	global_load_ubyte v6, v29, s[18:19]
	s_add_u32 s14, s14, 1
	s_addc_u32 s15, s15, 0
	s_waitcnt vmcnt(0)
	v_and_b32_e32 v28, 0xffff, v6
	v_lshlrev_b64 v[6:7], s12, v[28:29]
	s_add_u32 s12, s12, 8
	s_addc_u32 s13, s13, 0
	v_or_b32_e32 v14, v6, v14
	s_cmp_lg_u32 s16, s14
	v_or_b32_e32 v15, v7, v15
	s_cbranch_scc1 .LBB8_602
	s_branch .LBB8_605
.LBB8_603:                              ;   in Loop: Header=BB8_576 Depth=1
                                        ; implicit-def: $vgpr14_vgpr15
                                        ; implicit-def: $sgpr17
	s_branch .LBB8_606
.LBB8_604:                              ;   in Loop: Header=BB8_576 Depth=1
	v_pk_mov_b32 v[14:15], 0, 0
.LBB8_605:                              ;   in Loop: Header=BB8_576 Depth=1
	s_mov_b32 s17, 0
	s_cbranch_execnz .LBB8_607
.LBB8_606:                              ;   in Loop: Header=BB8_576 Depth=1
	global_load_dwordx2 v[14:15], v29, s[0:1]
	s_add_i32 s17, s16, -8
	s_add_u32 s0, s0, 8
	s_addc_u32 s1, s1, 0
.LBB8_607:                              ;   in Loop: Header=BB8_576 Depth=1
	s_cmp_gt_u32 s17, 7
	s_cbranch_scc1 .LBB8_611
; %bb.608:                              ;   in Loop: Header=BB8_576 Depth=1
	s_cmp_eq_u32 s17, 0
	s_cbranch_scc1 .LBB8_612
; %bb.609:                              ;   in Loop: Header=BB8_576 Depth=1
	s_mov_b64 s[12:13], 0
	v_pk_mov_b32 v[16:17], 0, 0
	s_mov_b64 s[14:15], 0
.LBB8_610:                              ;   Parent Loop BB8_576 Depth=1
                                        ; =>  This Inner Loop Header: Depth=2
	s_add_u32 s18, s0, s14
	s_addc_u32 s19, s1, s15
	global_load_ubyte v6, v29, s[18:19]
	s_add_u32 s14, s14, 1
	s_addc_u32 s15, s15, 0
	s_waitcnt vmcnt(0)
	v_and_b32_e32 v28, 0xffff, v6
	v_lshlrev_b64 v[6:7], s12, v[28:29]
	s_add_u32 s12, s12, 8
	s_addc_u32 s13, s13, 0
	v_or_b32_e32 v16, v6, v16
	s_cmp_lg_u32 s17, s14
	v_or_b32_e32 v17, v7, v17
	s_cbranch_scc1 .LBB8_610
	s_branch .LBB8_613
.LBB8_611:                              ;   in Loop: Header=BB8_576 Depth=1
                                        ; implicit-def: $sgpr16
	s_branch .LBB8_614
.LBB8_612:                              ;   in Loop: Header=BB8_576 Depth=1
	v_pk_mov_b32 v[16:17], 0, 0
.LBB8_613:                              ;   in Loop: Header=BB8_576 Depth=1
	s_mov_b32 s16, 0
	s_cbranch_execnz .LBB8_615
.LBB8_614:                              ;   in Loop: Header=BB8_576 Depth=1
	global_load_dwordx2 v[16:17], v29, s[0:1]
	s_add_i32 s16, s17, -8
	s_add_u32 s0, s0, 8
	s_addc_u32 s1, s1, 0
.LBB8_615:                              ;   in Loop: Header=BB8_576 Depth=1
	s_cmp_gt_u32 s16, 7
	s_cbranch_scc1 .LBB8_619
; %bb.616:                              ;   in Loop: Header=BB8_576 Depth=1
	s_cmp_eq_u32 s16, 0
	s_cbranch_scc1 .LBB8_620
; %bb.617:                              ;   in Loop: Header=BB8_576 Depth=1
	s_mov_b64 s[12:13], 0
	v_pk_mov_b32 v[18:19], 0, 0
	s_mov_b64 s[14:15], 0
.LBB8_618:                              ;   Parent Loop BB8_576 Depth=1
                                        ; =>  This Inner Loop Header: Depth=2
	s_add_u32 s18, s0, s14
	s_addc_u32 s19, s1, s15
	global_load_ubyte v6, v29, s[18:19]
	s_add_u32 s14, s14, 1
	s_addc_u32 s15, s15, 0
	s_waitcnt vmcnt(0)
	v_and_b32_e32 v28, 0xffff, v6
	v_lshlrev_b64 v[6:7], s12, v[28:29]
	s_add_u32 s12, s12, 8
	s_addc_u32 s13, s13, 0
	v_or_b32_e32 v18, v6, v18
	s_cmp_lg_u32 s16, s14
	v_or_b32_e32 v19, v7, v19
	s_cbranch_scc1 .LBB8_618
	s_branch .LBB8_621
.LBB8_619:                              ;   in Loop: Header=BB8_576 Depth=1
                                        ; implicit-def: $vgpr18_vgpr19
                                        ; implicit-def: $sgpr17
	s_branch .LBB8_622
.LBB8_620:                              ;   in Loop: Header=BB8_576 Depth=1
	v_pk_mov_b32 v[18:19], 0, 0
.LBB8_621:                              ;   in Loop: Header=BB8_576 Depth=1
	s_mov_b32 s17, 0
	s_cbranch_execnz .LBB8_623
.LBB8_622:                              ;   in Loop: Header=BB8_576 Depth=1
	global_load_dwordx2 v[18:19], v29, s[0:1]
	s_add_i32 s17, s16, -8
	s_add_u32 s0, s0, 8
	s_addc_u32 s1, s1, 0
.LBB8_623:                              ;   in Loop: Header=BB8_576 Depth=1
	s_cmp_gt_u32 s17, 7
	s_cbranch_scc1 .LBB8_627
; %bb.624:                              ;   in Loop: Header=BB8_576 Depth=1
	s_cmp_eq_u32 s17, 0
	s_cbranch_scc1 .LBB8_628
; %bb.625:                              ;   in Loop: Header=BB8_576 Depth=1
	s_mov_b64 s[12:13], 0
	v_pk_mov_b32 v[20:21], 0, 0
	s_mov_b64 s[14:15], s[0:1]
.LBB8_626:                              ;   Parent Loop BB8_576 Depth=1
                                        ; =>  This Inner Loop Header: Depth=2
	global_load_ubyte v6, v29, s[14:15]
	s_add_i32 s17, s17, -1
	s_waitcnt vmcnt(0)
	v_and_b32_e32 v28, 0xffff, v6
	v_lshlrev_b64 v[6:7], s12, v[28:29]
	s_add_u32 s12, s12, 8
	s_addc_u32 s13, s13, 0
	s_add_u32 s14, s14, 1
	s_addc_u32 s15, s15, 0
	v_or_b32_e32 v20, v6, v20
	s_cmp_lg_u32 s17, 0
	v_or_b32_e32 v21, v7, v21
	s_cbranch_scc1 .LBB8_626
	s_branch .LBB8_629
.LBB8_627:                              ;   in Loop: Header=BB8_576 Depth=1
	s_branch .LBB8_630
.LBB8_628:                              ;   in Loop: Header=BB8_576 Depth=1
	v_pk_mov_b32 v[20:21], 0, 0
.LBB8_629:                              ;   in Loop: Header=BB8_576 Depth=1
	s_cbranch_execnz .LBB8_631
.LBB8_630:                              ;   in Loop: Header=BB8_576 Depth=1
	global_load_dwordx2 v[20:21], v29, s[0:1]
.LBB8_631:                              ;   in Loop: Header=BB8_576 Depth=1
	v_readfirstlane_b32 s0, v35
	v_cmp_eq_u32_e64 s[0:1], s0, v35
	v_pk_mov_b32 v[6:7], 0, 0
	s_and_saveexec_b64 s[12:13], s[0:1]
	s_cbranch_execz .LBB8_637
; %bb.632:                              ;   in Loop: Header=BB8_576 Depth=1
	global_load_dwordx2 v[24:25], v29, s[2:3] offset:24 glc
	s_waitcnt vmcnt(0)
	buffer_invl2
	buffer_wbinvl1_vol
	global_load_dwordx2 v[6:7], v29, s[2:3] offset:40
	global_load_dwordx2 v[22:23], v29, s[2:3]
	s_waitcnt vmcnt(1)
	v_and_b32_e32 v6, v6, v24
	v_and_b32_e32 v7, v7, v25
	v_mul_lo_u32 v7, v7, 24
	v_mul_hi_u32 v27, v6, 24
	v_mul_lo_u32 v6, v6, 24
	v_add_u32_e32 v7, v27, v7
	s_waitcnt vmcnt(0)
	v_add_co_u32_e32 v6, vcc, v22, v6
	v_addc_co_u32_e32 v7, vcc, v23, v7, vcc
	global_load_dwordx2 v[22:23], v[6:7], off glc
	s_waitcnt vmcnt(0)
	global_atomic_cmpswap_x2 v[6:7], v29, v[22:25], s[2:3] offset:24 glc
	s_waitcnt vmcnt(0)
	buffer_invl2
	buffer_wbinvl1_vol
	v_cmp_ne_u64_e32 vcc, v[6:7], v[24:25]
	s_and_saveexec_b64 s[14:15], vcc
	s_cbranch_execz .LBB8_636
; %bb.633:                              ;   in Loop: Header=BB8_576 Depth=1
	s_mov_b64 s[16:17], 0
.LBB8_634:                              ;   Parent Loop BB8_576 Depth=1
                                        ; =>  This Inner Loop Header: Depth=2
	s_sleep 1
	global_load_dwordx2 v[22:23], v29, s[2:3] offset:40
	global_load_dwordx2 v[30:31], v29, s[2:3]
	v_pk_mov_b32 v[24:25], v[6:7], v[6:7] op_sel:[0,1]
	s_waitcnt vmcnt(1)
	v_and_b32_e32 v6, v22, v24
	s_waitcnt vmcnt(0)
	v_mad_u64_u32 v[6:7], s[18:19], v6, 24, v[30:31]
	v_and_b32_e32 v23, v23, v25
	v_mov_b32_e32 v22, v7
	v_mad_u64_u32 v[22:23], s[18:19], v23, 24, v[22:23]
	v_mov_b32_e32 v7, v22
	global_load_dwordx2 v[22:23], v[6:7], off glc
	s_waitcnt vmcnt(0)
	global_atomic_cmpswap_x2 v[6:7], v29, v[22:25], s[2:3] offset:24 glc
	s_waitcnt vmcnt(0)
	buffer_invl2
	buffer_wbinvl1_vol
	v_cmp_eq_u64_e32 vcc, v[6:7], v[24:25]
	s_or_b64 s[16:17], vcc, s[16:17]
	s_andn2_b64 exec, exec, s[16:17]
	s_cbranch_execnz .LBB8_634
; %bb.635:                              ;   in Loop: Header=BB8_576 Depth=1
	s_or_b64 exec, exec, s[16:17]
.LBB8_636:                              ;   in Loop: Header=BB8_576 Depth=1
	s_or_b64 exec, exec, s[14:15]
.LBB8_637:                              ;   in Loop: Header=BB8_576 Depth=1
	s_or_b64 exec, exec, s[12:13]
	global_load_dwordx2 v[30:31], v29, s[2:3] offset:40
	global_load_dwordx4 v[22:25], v29, s[2:3]
	v_readfirstlane_b32 s12, v6
	v_readfirstlane_b32 s13, v7
	s_mov_b64 s[14:15], exec
	s_waitcnt vmcnt(1)
	v_readfirstlane_b32 s16, v30
	v_readfirstlane_b32 s17, v31
	s_and_b64 s[16:17], s[12:13], s[16:17]
	s_mul_i32 s18, s17, 24
	s_mul_hi_u32 s19, s16, 24
	s_mul_i32 s20, s16, 24
	s_add_i32 s18, s19, s18
	v_mov_b32_e32 v6, s18
	s_waitcnt vmcnt(0)
	v_add_co_u32_e32 v30, vcc, s20, v22
	v_addc_co_u32_e32 v31, vcc, v23, v6, vcc
	s_and_saveexec_b64 s[18:19], s[0:1]
	s_cbranch_execz .LBB8_639
; %bb.638:                              ;   in Loop: Header=BB8_576 Depth=1
	v_pk_mov_b32 v[6:7], s[14:15], s[14:15] op_sel:[0,1]
	global_store_dwordx4 v[30:31], v[6:9], off offset:8
.LBB8_639:                              ;   in Loop: Header=BB8_576 Depth=1
	s_or_b64 exec, exec, s[18:19]
	s_lshl_b64 s[14:15], s[16:17], 12
	v_mov_b32_e32 v7, s15
	v_add_co_u32_e32 v6, vcc, s14, v24
	v_addc_co_u32_e32 v7, vcc, v25, v7, vcc
	v_or_b32_e32 v25, v0, v26
	v_cmp_gt_u64_e64 vcc, s[8:9], 56
	s_lshl_b32 s14, s10, 2
	v_cndmask_b32_e32 v0, v25, v0, vcc
	s_add_i32 s14, s14, 28
	v_or_b32_e32 v24, 0, v1
	s_and_b32 s14, s14, 0x1e0
	v_and_b32_e32 v0, 0xffffff1f, v0
	v_cndmask_b32_e32 v1, v24, v1, vcc
	v_or_b32_e32 v0, s14, v0
	v_readfirstlane_b32 s14, v6
	v_readfirstlane_b32 s15, v7
	s_nop 4
	global_store_dwordx4 v34, v[0:3], s[14:15]
	global_store_dwordx4 v34, v[10:13], s[14:15] offset:16
	global_store_dwordx4 v34, v[14:17], s[14:15] offset:32
	;; [unrolled: 1-line block ×3, first 2 shown]
	s_and_saveexec_b64 s[14:15], s[0:1]
	s_cbranch_execz .LBB8_647
; %bb.640:                              ;   in Loop: Header=BB8_576 Depth=1
	global_load_dwordx2 v[14:15], v29, s[2:3] offset:32 glc
	global_load_dwordx2 v[0:1], v29, s[2:3] offset:40
	v_mov_b32_e32 v12, s12
	v_mov_b32_e32 v13, s13
	s_waitcnt vmcnt(0)
	v_readfirstlane_b32 s16, v0
	v_readfirstlane_b32 s17, v1
	s_and_b64 s[16:17], s[16:17], s[12:13]
	s_mul_i32 s17, s17, 24
	s_mul_hi_u32 s18, s16, 24
	s_mul_i32 s16, s16, 24
	s_add_i32 s17, s18, s17
	v_mov_b32_e32 v0, s17
	v_add_co_u32_e32 v10, vcc, s16, v22
	v_addc_co_u32_e32 v11, vcc, v23, v0, vcc
	global_store_dwordx2 v[10:11], v[14:15], off
	buffer_wbl2
	s_waitcnt vmcnt(0)
	global_atomic_cmpswap_x2 v[2:3], v29, v[12:15], s[2:3] offset:32 glc
	s_waitcnt vmcnt(0)
	v_cmp_ne_u64_e32 vcc, v[2:3], v[14:15]
	s_and_saveexec_b64 s[16:17], vcc
	s_cbranch_execz .LBB8_643
; %bb.641:                              ;   in Loop: Header=BB8_576 Depth=1
	s_mov_b64 s[18:19], 0
.LBB8_642:                              ;   Parent Loop BB8_576 Depth=1
                                        ; =>  This Inner Loop Header: Depth=2
	s_sleep 1
	global_store_dwordx2 v[10:11], v[2:3], off
	v_mov_b32_e32 v0, s12
	v_mov_b32_e32 v1, s13
	buffer_wbl2
	s_waitcnt vmcnt(0)
	global_atomic_cmpswap_x2 v[0:1], v29, v[0:3], s[2:3] offset:32 glc
	s_waitcnt vmcnt(0)
	v_cmp_eq_u64_e32 vcc, v[0:1], v[2:3]
	s_or_b64 s[18:19], vcc, s[18:19]
	v_pk_mov_b32 v[2:3], v[0:1], v[0:1] op_sel:[0,1]
	s_andn2_b64 exec, exec, s[18:19]
	s_cbranch_execnz .LBB8_642
.LBB8_643:                              ;   in Loop: Header=BB8_576 Depth=1
	s_or_b64 exec, exec, s[16:17]
	global_load_dwordx2 v[0:1], v29, s[2:3] offset:16
	s_mov_b64 s[18:19], exec
	v_mbcnt_lo_u32_b32 v2, s18, 0
	v_mbcnt_hi_u32_b32 v2, s19, v2
	v_cmp_eq_u32_e32 vcc, 0, v2
	s_and_saveexec_b64 s[16:17], vcc
	s_cbranch_execz .LBB8_645
; %bb.644:                              ;   in Loop: Header=BB8_576 Depth=1
	s_bcnt1_i32_b64 s18, s[18:19]
	v_mov_b32_e32 v28, s18
	buffer_wbl2
	s_waitcnt vmcnt(0)
	global_atomic_add_x2 v[0:1], v[28:29], off offset:8
.LBB8_645:                              ;   in Loop: Header=BB8_576 Depth=1
	s_or_b64 exec, exec, s[16:17]
	s_waitcnt vmcnt(0)
	global_load_dwordx2 v[2:3], v[0:1], off offset:16
	s_waitcnt vmcnt(0)
	v_cmp_eq_u64_e32 vcc, 0, v[2:3]
	s_cbranch_vccnz .LBB8_647
; %bb.646:                              ;   in Loop: Header=BB8_576 Depth=1
	global_load_dword v28, v[0:1], off offset:24
	s_waitcnt vmcnt(0)
	v_and_b32_e32 v0, 0xffffff, v28
	v_readfirstlane_b32 m0, v0
	buffer_wbl2
	global_store_dwordx2 v[2:3], v[28:29], off
	s_sendmsg sendmsg(MSG_INTERRUPT)
.LBB8_647:                              ;   in Loop: Header=BB8_576 Depth=1
	s_or_b64 exec, exec, s[14:15]
	v_add_co_u32_e32 v0, vcc, v6, v34
	v_addc_co_u32_e32 v1, vcc, 0, v7, vcc
	s_branch .LBB8_651
.LBB8_648:                              ;   in Loop: Header=BB8_651 Depth=2
	s_or_b64 exec, exec, s[14:15]
	v_readfirstlane_b32 s14, v2
	s_cmp_eq_u32 s14, 0
	s_cbranch_scc1 .LBB8_650
; %bb.649:                              ;   in Loop: Header=BB8_651 Depth=2
	s_sleep 1
	s_cbranch_execnz .LBB8_651
	s_branch .LBB8_653
.LBB8_650:                              ;   in Loop: Header=BB8_576 Depth=1
	s_branch .LBB8_653
.LBB8_651:                              ;   Parent Loop BB8_576 Depth=1
                                        ; =>  This Inner Loop Header: Depth=2
	v_mov_b32_e32 v2, 1
	s_and_saveexec_b64 s[14:15], s[0:1]
	s_cbranch_execz .LBB8_648
; %bb.652:                              ;   in Loop: Header=BB8_651 Depth=2
	global_load_dword v2, v[30:31], off offset:20 glc
	s_waitcnt vmcnt(0)
	buffer_invl2
	buffer_wbinvl1_vol
	v_and_b32_e32 v2, 1, v2
	s_branch .LBB8_648
.LBB8_653:                              ;   in Loop: Header=BB8_576 Depth=1
	global_load_dwordx4 v[0:3], v[0:1], off
	s_and_saveexec_b64 s[14:15], s[0:1]
	s_cbranch_execz .LBB8_575
; %bb.654:                              ;   in Loop: Header=BB8_576 Depth=1
	global_load_dwordx2 v[2:3], v29, s[2:3] offset:40
	global_load_dwordx2 v[6:7], v29, s[2:3] offset:24 glc
	global_load_dwordx2 v[14:15], v29, s[2:3]
	v_mov_b32_e32 v11, s13
	s_waitcnt vmcnt(2)
	v_add_co_u32_e32 v13, vcc, 1, v2
	v_addc_co_u32_e32 v16, vcc, 0, v3, vcc
	v_add_co_u32_e32 v10, vcc, s12, v13
	v_addc_co_u32_e32 v11, vcc, v16, v11, vcc
	v_cmp_eq_u64_e32 vcc, 0, v[10:11]
	v_cndmask_b32_e32 v11, v11, v16, vcc
	v_cndmask_b32_e32 v10, v10, v13, vcc
	v_and_b32_e32 v3, v11, v3
	v_and_b32_e32 v2, v10, v2
	v_mul_lo_u32 v3, v3, 24
	v_mul_hi_u32 v13, v2, 24
	v_mul_lo_u32 v2, v2, 24
	v_add_u32_e32 v3, v13, v3
	s_waitcnt vmcnt(0)
	v_add_co_u32_e32 v2, vcc, v14, v2
	v_addc_co_u32_e32 v3, vcc, v15, v3, vcc
	v_mov_b32_e32 v12, v6
	global_store_dwordx2 v[2:3], v[6:7], off
	v_mov_b32_e32 v13, v7
	buffer_wbl2
	s_waitcnt vmcnt(0)
	global_atomic_cmpswap_x2 v[12:13], v29, v[10:13], s[2:3] offset:24 glc
	s_waitcnt vmcnt(0)
	v_cmp_ne_u64_e32 vcc, v[12:13], v[6:7]
	s_and_b64 exec, exec, vcc
	s_cbranch_execz .LBB8_575
; %bb.655:                              ;   in Loop: Header=BB8_576 Depth=1
	s_mov_b64 s[0:1], 0
.LBB8_656:                              ;   Parent Loop BB8_576 Depth=1
                                        ; =>  This Inner Loop Header: Depth=2
	s_sleep 1
	global_store_dwordx2 v[2:3], v[12:13], off
	buffer_wbl2
	s_waitcnt vmcnt(0)
	global_atomic_cmpswap_x2 v[6:7], v29, v[10:13], s[2:3] offset:24 glc
	s_waitcnt vmcnt(0)
	v_cmp_eq_u64_e32 vcc, v[6:7], v[12:13]
	s_or_b64 s[0:1], vcc, s[0:1]
	v_pk_mov_b32 v[12:13], v[6:7], v[6:7] op_sel:[0,1]
	s_andn2_b64 exec, exec, s[0:1]
	s_cbranch_execnz .LBB8_656
	s_branch .LBB8_575
.LBB8_657:
.LBB8_658:
	s_and_b64 vcc, exec, s[6:7]
	s_cbranch_vccz .LBB8_770
.LBB8_659:
	s_waitcnt vmcnt(0)
	v_and_b32_e32 v28, 2, v0
	v_mov_b32_e32 v31, 0
	v_and_b32_e32 v2, -3, v0
	v_mov_b32_e32 v3, v1
	s_mov_b64 s[6:7], 52
	v_mov_b32_e32 v6, 2
	v_mov_b32_e32 v7, 1
	s_getpc_b64 s[4:5]
	s_add_u32 s4, s4, .str.10@rel32@lo+4
	s_addc_u32 s5, s5, .str.10@rel32@hi+12
	s_branch .LBB8_661
.LBB8_660:                              ;   in Loop: Header=BB8_661 Depth=1
	s_or_b64 exec, exec, s[12:13]
	s_sub_u32 s6, s6, s8
	s_subb_u32 s7, s7, s9
	s_add_u32 s4, s4, s8
	s_addc_u32 s5, s5, s9
	s_cmp_lg_u64 s[6:7], 0
	s_cbranch_scc0 .LBB8_742
.LBB8_661:                              ; =>This Loop Header: Depth=1
                                        ;     Child Loop BB8_664 Depth 2
                                        ;     Child Loop BB8_671 Depth 2
	;; [unrolled: 1-line block ×11, first 2 shown]
	v_cmp_lt_u64_e64 s[0:1], s[6:7], 56
	s_and_b64 s[0:1], s[0:1], exec
	v_cmp_gt_u64_e64 s[0:1], s[6:7], 7
	s_cselect_b32 s9, s7, 0
	s_cselect_b32 s8, s6, 56
	s_and_b64 vcc, exec, s[0:1]
	s_cbranch_vccnz .LBB8_666
; %bb.662:                              ;   in Loop: Header=BB8_661 Depth=1
	s_mov_b64 s[0:1], 0
	s_cmp_eq_u64 s[6:7], 0
	v_pk_mov_b32 v[10:11], 0, 0
	s_cbranch_scc1 .LBB8_665
; %bb.663:                              ;   in Loop: Header=BB8_661 Depth=1
	s_lshl_b64 s[10:11], s[8:9], 3
	s_mov_b64 s[12:13], 0
	v_pk_mov_b32 v[10:11], 0, 0
	s_mov_b64 s[14:15], s[4:5]
.LBB8_664:                              ;   Parent Loop BB8_661 Depth=1
                                        ; =>  This Inner Loop Header: Depth=2
	global_load_ubyte v4, v31, s[14:15]
	s_waitcnt vmcnt(0)
	v_and_b32_e32 v30, 0xffff, v4
	v_lshlrev_b64 v[4:5], s12, v[30:31]
	s_add_u32 s12, s12, 8
	s_addc_u32 s13, s13, 0
	s_add_u32 s14, s14, 1
	s_addc_u32 s15, s15, 0
	v_or_b32_e32 v10, v4, v10
	s_cmp_lg_u32 s10, s12
	v_or_b32_e32 v11, v5, v11
	s_cbranch_scc1 .LBB8_664
.LBB8_665:                              ;   in Loop: Header=BB8_661 Depth=1
	s_mov_b32 s14, 0
	s_andn2_b64 vcc, exec, s[0:1]
	s_mov_b64 s[0:1], s[4:5]
	s_cbranch_vccz .LBB8_667
	s_branch .LBB8_668
.LBB8_666:                              ;   in Loop: Header=BB8_661 Depth=1
                                        ; implicit-def: $vgpr10_vgpr11
                                        ; implicit-def: $sgpr14
	s_mov_b64 s[0:1], s[4:5]
.LBB8_667:                              ;   in Loop: Header=BB8_661 Depth=1
	global_load_dwordx2 v[10:11], v31, s[4:5]
	s_add_i32 s14, s8, -8
	s_add_u32 s0, s4, 8
	s_addc_u32 s1, s5, 0
.LBB8_668:                              ;   in Loop: Header=BB8_661 Depth=1
	s_cmp_gt_u32 s14, 7
	s_cbranch_scc1 .LBB8_672
; %bb.669:                              ;   in Loop: Header=BB8_661 Depth=1
	s_cmp_eq_u32 s14, 0
	s_cbranch_scc1 .LBB8_673
; %bb.670:                              ;   in Loop: Header=BB8_661 Depth=1
	s_mov_b64 s[10:11], 0
	v_pk_mov_b32 v[12:13], 0, 0
	s_mov_b64 s[12:13], 0
.LBB8_671:                              ;   Parent Loop BB8_661 Depth=1
                                        ; =>  This Inner Loop Header: Depth=2
	s_add_u32 s16, s0, s12
	s_addc_u32 s17, s1, s13
	global_load_ubyte v4, v31, s[16:17]
	s_add_u32 s12, s12, 1
	s_addc_u32 s13, s13, 0
	s_waitcnt vmcnt(0)
	v_and_b32_e32 v30, 0xffff, v4
	v_lshlrev_b64 v[4:5], s10, v[30:31]
	s_add_u32 s10, s10, 8
	s_addc_u32 s11, s11, 0
	v_or_b32_e32 v12, v4, v12
	s_cmp_lg_u32 s14, s12
	v_or_b32_e32 v13, v5, v13
	s_cbranch_scc1 .LBB8_671
	s_branch .LBB8_674
.LBB8_672:                              ;   in Loop: Header=BB8_661 Depth=1
                                        ; implicit-def: $vgpr12_vgpr13
                                        ; implicit-def: $sgpr15
	s_branch .LBB8_675
.LBB8_673:                              ;   in Loop: Header=BB8_661 Depth=1
	v_pk_mov_b32 v[12:13], 0, 0
.LBB8_674:                              ;   in Loop: Header=BB8_661 Depth=1
	s_mov_b32 s15, 0
	s_cbranch_execnz .LBB8_676
.LBB8_675:                              ;   in Loop: Header=BB8_661 Depth=1
	global_load_dwordx2 v[12:13], v31, s[0:1]
	s_add_i32 s15, s14, -8
	s_add_u32 s0, s0, 8
	s_addc_u32 s1, s1, 0
.LBB8_676:                              ;   in Loop: Header=BB8_661 Depth=1
	s_cmp_gt_u32 s15, 7
	s_cbranch_scc1 .LBB8_680
; %bb.677:                              ;   in Loop: Header=BB8_661 Depth=1
	s_cmp_eq_u32 s15, 0
	s_cbranch_scc1 .LBB8_681
; %bb.678:                              ;   in Loop: Header=BB8_661 Depth=1
	s_mov_b64 s[10:11], 0
	v_pk_mov_b32 v[14:15], 0, 0
	s_mov_b64 s[12:13], 0
.LBB8_679:                              ;   Parent Loop BB8_661 Depth=1
                                        ; =>  This Inner Loop Header: Depth=2
	s_add_u32 s16, s0, s12
	s_addc_u32 s17, s1, s13
	global_load_ubyte v4, v31, s[16:17]
	s_add_u32 s12, s12, 1
	s_addc_u32 s13, s13, 0
	s_waitcnt vmcnt(0)
	v_and_b32_e32 v30, 0xffff, v4
	v_lshlrev_b64 v[4:5], s10, v[30:31]
	s_add_u32 s10, s10, 8
	s_addc_u32 s11, s11, 0
	v_or_b32_e32 v14, v4, v14
	s_cmp_lg_u32 s15, s12
	v_or_b32_e32 v15, v5, v15
	s_cbranch_scc1 .LBB8_679
	s_branch .LBB8_682
.LBB8_680:                              ;   in Loop: Header=BB8_661 Depth=1
                                        ; implicit-def: $sgpr14
	s_branch .LBB8_683
.LBB8_681:                              ;   in Loop: Header=BB8_661 Depth=1
	v_pk_mov_b32 v[14:15], 0, 0
.LBB8_682:                              ;   in Loop: Header=BB8_661 Depth=1
	s_mov_b32 s14, 0
	s_cbranch_execnz .LBB8_684
.LBB8_683:                              ;   in Loop: Header=BB8_661 Depth=1
	global_load_dwordx2 v[14:15], v31, s[0:1]
	s_add_i32 s14, s15, -8
	s_add_u32 s0, s0, 8
	s_addc_u32 s1, s1, 0
.LBB8_684:                              ;   in Loop: Header=BB8_661 Depth=1
	s_cmp_gt_u32 s14, 7
	s_cbranch_scc1 .LBB8_688
; %bb.685:                              ;   in Loop: Header=BB8_661 Depth=1
	s_cmp_eq_u32 s14, 0
	s_cbranch_scc1 .LBB8_689
; %bb.686:                              ;   in Loop: Header=BB8_661 Depth=1
	s_mov_b64 s[10:11], 0
	v_pk_mov_b32 v[16:17], 0, 0
	s_mov_b64 s[12:13], 0
.LBB8_687:                              ;   Parent Loop BB8_661 Depth=1
                                        ; =>  This Inner Loop Header: Depth=2
	s_add_u32 s16, s0, s12
	s_addc_u32 s17, s1, s13
	global_load_ubyte v4, v31, s[16:17]
	s_add_u32 s12, s12, 1
	s_addc_u32 s13, s13, 0
	s_waitcnt vmcnt(0)
	v_and_b32_e32 v30, 0xffff, v4
	v_lshlrev_b64 v[4:5], s10, v[30:31]
	s_add_u32 s10, s10, 8
	s_addc_u32 s11, s11, 0
	v_or_b32_e32 v16, v4, v16
	s_cmp_lg_u32 s14, s12
	v_or_b32_e32 v17, v5, v17
	s_cbranch_scc1 .LBB8_687
	s_branch .LBB8_690
.LBB8_688:                              ;   in Loop: Header=BB8_661 Depth=1
                                        ; implicit-def: $vgpr16_vgpr17
                                        ; implicit-def: $sgpr15
	s_branch .LBB8_691
.LBB8_689:                              ;   in Loop: Header=BB8_661 Depth=1
	v_pk_mov_b32 v[16:17], 0, 0
.LBB8_690:                              ;   in Loop: Header=BB8_661 Depth=1
	s_mov_b32 s15, 0
	s_cbranch_execnz .LBB8_692
.LBB8_691:                              ;   in Loop: Header=BB8_661 Depth=1
	global_load_dwordx2 v[16:17], v31, s[0:1]
	s_add_i32 s15, s14, -8
	s_add_u32 s0, s0, 8
	s_addc_u32 s1, s1, 0
.LBB8_692:                              ;   in Loop: Header=BB8_661 Depth=1
	s_cmp_gt_u32 s15, 7
	s_cbranch_scc1 .LBB8_696
; %bb.693:                              ;   in Loop: Header=BB8_661 Depth=1
	s_cmp_eq_u32 s15, 0
	s_cbranch_scc1 .LBB8_697
; %bb.694:                              ;   in Loop: Header=BB8_661 Depth=1
	s_mov_b64 s[10:11], 0
	v_pk_mov_b32 v[18:19], 0, 0
	s_mov_b64 s[12:13], 0
.LBB8_695:                              ;   Parent Loop BB8_661 Depth=1
                                        ; =>  This Inner Loop Header: Depth=2
	s_add_u32 s16, s0, s12
	s_addc_u32 s17, s1, s13
	global_load_ubyte v4, v31, s[16:17]
	s_add_u32 s12, s12, 1
	s_addc_u32 s13, s13, 0
	s_waitcnt vmcnt(0)
	v_and_b32_e32 v30, 0xffff, v4
	v_lshlrev_b64 v[4:5], s10, v[30:31]
	s_add_u32 s10, s10, 8
	s_addc_u32 s11, s11, 0
	v_or_b32_e32 v18, v4, v18
	s_cmp_lg_u32 s15, s12
	v_or_b32_e32 v19, v5, v19
	s_cbranch_scc1 .LBB8_695
	s_branch .LBB8_698
.LBB8_696:                              ;   in Loop: Header=BB8_661 Depth=1
                                        ; implicit-def: $sgpr14
	s_branch .LBB8_699
.LBB8_697:                              ;   in Loop: Header=BB8_661 Depth=1
	v_pk_mov_b32 v[18:19], 0, 0
.LBB8_698:                              ;   in Loop: Header=BB8_661 Depth=1
	s_mov_b32 s14, 0
	s_cbranch_execnz .LBB8_700
.LBB8_699:                              ;   in Loop: Header=BB8_661 Depth=1
	global_load_dwordx2 v[18:19], v31, s[0:1]
	s_add_i32 s14, s15, -8
	s_add_u32 s0, s0, 8
	s_addc_u32 s1, s1, 0
.LBB8_700:                              ;   in Loop: Header=BB8_661 Depth=1
	s_cmp_gt_u32 s14, 7
	s_cbranch_scc1 .LBB8_704
; %bb.701:                              ;   in Loop: Header=BB8_661 Depth=1
	s_cmp_eq_u32 s14, 0
	s_cbranch_scc1 .LBB8_705
; %bb.702:                              ;   in Loop: Header=BB8_661 Depth=1
	s_mov_b64 s[10:11], 0
	v_pk_mov_b32 v[20:21], 0, 0
	s_mov_b64 s[12:13], 0
.LBB8_703:                              ;   Parent Loop BB8_661 Depth=1
                                        ; =>  This Inner Loop Header: Depth=2
	s_add_u32 s16, s0, s12
	s_addc_u32 s17, s1, s13
	global_load_ubyte v4, v31, s[16:17]
	s_add_u32 s12, s12, 1
	s_addc_u32 s13, s13, 0
	s_waitcnt vmcnt(0)
	v_and_b32_e32 v30, 0xffff, v4
	v_lshlrev_b64 v[4:5], s10, v[30:31]
	s_add_u32 s10, s10, 8
	s_addc_u32 s11, s11, 0
	v_or_b32_e32 v20, v4, v20
	s_cmp_lg_u32 s14, s12
	v_or_b32_e32 v21, v5, v21
	s_cbranch_scc1 .LBB8_703
	s_branch .LBB8_706
.LBB8_704:                              ;   in Loop: Header=BB8_661 Depth=1
                                        ; implicit-def: $vgpr20_vgpr21
                                        ; implicit-def: $sgpr15
	s_branch .LBB8_707
.LBB8_705:                              ;   in Loop: Header=BB8_661 Depth=1
	v_pk_mov_b32 v[20:21], 0, 0
.LBB8_706:                              ;   in Loop: Header=BB8_661 Depth=1
	s_mov_b32 s15, 0
	s_cbranch_execnz .LBB8_708
.LBB8_707:                              ;   in Loop: Header=BB8_661 Depth=1
	global_load_dwordx2 v[20:21], v31, s[0:1]
	s_add_i32 s15, s14, -8
	s_add_u32 s0, s0, 8
	s_addc_u32 s1, s1, 0
.LBB8_708:                              ;   in Loop: Header=BB8_661 Depth=1
	s_cmp_gt_u32 s15, 7
	s_cbranch_scc1 .LBB8_712
; %bb.709:                              ;   in Loop: Header=BB8_661 Depth=1
	s_cmp_eq_u32 s15, 0
	s_cbranch_scc1 .LBB8_713
; %bb.710:                              ;   in Loop: Header=BB8_661 Depth=1
	s_mov_b64 s[10:11], 0
	v_pk_mov_b32 v[22:23], 0, 0
	s_mov_b64 s[12:13], s[0:1]
.LBB8_711:                              ;   Parent Loop BB8_661 Depth=1
                                        ; =>  This Inner Loop Header: Depth=2
	global_load_ubyte v4, v31, s[12:13]
	s_add_i32 s15, s15, -1
	s_waitcnt vmcnt(0)
	v_and_b32_e32 v30, 0xffff, v4
	v_lshlrev_b64 v[4:5], s10, v[30:31]
	s_add_u32 s10, s10, 8
	s_addc_u32 s11, s11, 0
	s_add_u32 s12, s12, 1
	s_addc_u32 s13, s13, 0
	v_or_b32_e32 v22, v4, v22
	s_cmp_lg_u32 s15, 0
	v_or_b32_e32 v23, v5, v23
	s_cbranch_scc1 .LBB8_711
	s_branch .LBB8_714
.LBB8_712:                              ;   in Loop: Header=BB8_661 Depth=1
	s_branch .LBB8_715
.LBB8_713:                              ;   in Loop: Header=BB8_661 Depth=1
	v_pk_mov_b32 v[22:23], 0, 0
.LBB8_714:                              ;   in Loop: Header=BB8_661 Depth=1
	s_cbranch_execnz .LBB8_716
.LBB8_715:                              ;   in Loop: Header=BB8_661 Depth=1
	global_load_dwordx2 v[22:23], v31, s[0:1]
.LBB8_716:                              ;   in Loop: Header=BB8_661 Depth=1
	v_readfirstlane_b32 s0, v35
	v_cmp_eq_u32_e64 s[0:1], s0, v35
	s_waitcnt vmcnt(0)
	v_pk_mov_b32 v[4:5], 0, 0
	s_and_saveexec_b64 s[10:11], s[0:1]
	s_cbranch_execz .LBB8_722
; %bb.717:                              ;   in Loop: Header=BB8_661 Depth=1
	global_load_dwordx2 v[26:27], v31, s[2:3] offset:24 glc
	s_waitcnt vmcnt(0)
	buffer_invl2
	buffer_wbinvl1_vol
	global_load_dwordx2 v[4:5], v31, s[2:3] offset:40
	global_load_dwordx2 v[8:9], v31, s[2:3]
	s_waitcnt vmcnt(1)
	v_and_b32_e32 v4, v4, v26
	v_and_b32_e32 v5, v5, v27
	v_mul_lo_u32 v5, v5, 24
	v_mul_hi_u32 v24, v4, 24
	v_mul_lo_u32 v4, v4, 24
	v_add_u32_e32 v5, v24, v5
	s_waitcnt vmcnt(0)
	v_add_co_u32_e32 v4, vcc, v8, v4
	v_addc_co_u32_e32 v5, vcc, v9, v5, vcc
	global_load_dwordx2 v[24:25], v[4:5], off glc
	s_waitcnt vmcnt(0)
	global_atomic_cmpswap_x2 v[4:5], v31, v[24:27], s[2:3] offset:24 glc
	s_waitcnt vmcnt(0)
	buffer_invl2
	buffer_wbinvl1_vol
	v_cmp_ne_u64_e32 vcc, v[4:5], v[26:27]
	s_and_saveexec_b64 s[12:13], vcc
	s_cbranch_execz .LBB8_721
; %bb.718:                              ;   in Loop: Header=BB8_661 Depth=1
	s_mov_b64 s[14:15], 0
.LBB8_719:                              ;   Parent Loop BB8_661 Depth=1
                                        ; =>  This Inner Loop Header: Depth=2
	s_sleep 1
	global_load_dwordx2 v[8:9], v31, s[2:3] offset:40
	global_load_dwordx2 v[24:25], v31, s[2:3]
	v_pk_mov_b32 v[26:27], v[4:5], v[4:5] op_sel:[0,1]
	s_waitcnt vmcnt(1)
	v_and_b32_e32 v4, v8, v26
	s_waitcnt vmcnt(0)
	v_mad_u64_u32 v[4:5], s[16:17], v4, 24, v[24:25]
	v_and_b32_e32 v9, v9, v27
	v_mov_b32_e32 v8, v5
	v_mad_u64_u32 v[8:9], s[16:17], v9, 24, v[8:9]
	v_mov_b32_e32 v5, v8
	global_load_dwordx2 v[24:25], v[4:5], off glc
	s_waitcnt vmcnt(0)
	global_atomic_cmpswap_x2 v[4:5], v31, v[24:27], s[2:3] offset:24 glc
	s_waitcnt vmcnt(0)
	buffer_invl2
	buffer_wbinvl1_vol
	v_cmp_eq_u64_e32 vcc, v[4:5], v[26:27]
	s_or_b64 s[14:15], vcc, s[14:15]
	s_andn2_b64 exec, exec, s[14:15]
	s_cbranch_execnz .LBB8_719
; %bb.720:                              ;   in Loop: Header=BB8_661 Depth=1
	s_or_b64 exec, exec, s[14:15]
.LBB8_721:                              ;   in Loop: Header=BB8_661 Depth=1
	s_or_b64 exec, exec, s[12:13]
.LBB8_722:                              ;   in Loop: Header=BB8_661 Depth=1
	s_or_b64 exec, exec, s[10:11]
	global_load_dwordx2 v[8:9], v31, s[2:3] offset:40
	global_load_dwordx4 v[24:27], v31, s[2:3]
	v_readfirstlane_b32 s10, v4
	v_readfirstlane_b32 s11, v5
	s_mov_b64 s[12:13], exec
	s_waitcnt vmcnt(1)
	v_readfirstlane_b32 s14, v8
	v_readfirstlane_b32 s15, v9
	s_and_b64 s[14:15], s[10:11], s[14:15]
	s_mul_i32 s16, s15, 24
	s_mul_hi_u32 s17, s14, 24
	s_mul_i32 s18, s14, 24
	s_add_i32 s16, s17, s16
	v_mov_b32_e32 v4, s16
	s_waitcnt vmcnt(0)
	v_add_co_u32_e32 v32, vcc, s18, v24
	v_addc_co_u32_e32 v33, vcc, v25, v4, vcc
	s_and_saveexec_b64 s[16:17], s[0:1]
	s_cbranch_execz .LBB8_724
; %bb.723:                              ;   in Loop: Header=BB8_661 Depth=1
	v_pk_mov_b32 v[4:5], s[12:13], s[12:13] op_sel:[0,1]
	global_store_dwordx4 v[32:33], v[4:7], off offset:8
.LBB8_724:                              ;   in Loop: Header=BB8_661 Depth=1
	s_or_b64 exec, exec, s[16:17]
	s_lshl_b64 s[12:13], s[14:15], 12
	v_mov_b32_e32 v4, s13
	v_add_co_u32_e32 v26, vcc, s12, v26
	v_addc_co_u32_e32 v27, vcc, v27, v4, vcc
	v_or_b32_e32 v5, v2, v28
	v_cmp_gt_u64_e64 vcc, s[6:7], 56
	s_lshl_b32 s12, s8, 2
	v_cndmask_b32_e32 v2, v5, v2, vcc
	s_add_i32 s12, s12, 28
	v_or_b32_e32 v4, 0, v3
	s_and_b32 s12, s12, 0x1e0
	v_and_b32_e32 v2, 0xffffff1f, v2
	v_cndmask_b32_e32 v9, v4, v3, vcc
	v_or_b32_e32 v8, s12, v2
	v_readfirstlane_b32 s12, v26
	v_readfirstlane_b32 s13, v27
	s_nop 4
	global_store_dwordx4 v34, v[8:11], s[12:13]
	global_store_dwordx4 v34, v[12:15], s[12:13] offset:16
	global_store_dwordx4 v34, v[16:19], s[12:13] offset:32
	;; [unrolled: 1-line block ×3, first 2 shown]
	s_and_saveexec_b64 s[12:13], s[0:1]
	s_cbranch_execz .LBB8_732
; %bb.725:                              ;   in Loop: Header=BB8_661 Depth=1
	global_load_dwordx2 v[12:13], v31, s[2:3] offset:32 glc
	global_load_dwordx2 v[2:3], v31, s[2:3] offset:40
	v_mov_b32_e32 v10, s10
	v_mov_b32_e32 v11, s11
	s_waitcnt vmcnt(0)
	v_readfirstlane_b32 s14, v2
	v_readfirstlane_b32 s15, v3
	s_and_b64 s[14:15], s[14:15], s[10:11]
	s_mul_i32 s15, s15, 24
	s_mul_hi_u32 s16, s14, 24
	s_mul_i32 s14, s14, 24
	s_add_i32 s15, s16, s15
	v_mov_b32_e32 v2, s15
	v_add_co_u32_e32 v8, vcc, s14, v24
	v_addc_co_u32_e32 v9, vcc, v25, v2, vcc
	global_store_dwordx2 v[8:9], v[12:13], off
	buffer_wbl2
	s_waitcnt vmcnt(0)
	global_atomic_cmpswap_x2 v[4:5], v31, v[10:13], s[2:3] offset:32 glc
	s_waitcnt vmcnt(0)
	v_cmp_ne_u64_e32 vcc, v[4:5], v[12:13]
	s_and_saveexec_b64 s[14:15], vcc
	s_cbranch_execz .LBB8_728
; %bb.726:                              ;   in Loop: Header=BB8_661 Depth=1
	s_mov_b64 s[16:17], 0
.LBB8_727:                              ;   Parent Loop BB8_661 Depth=1
                                        ; =>  This Inner Loop Header: Depth=2
	s_sleep 1
	global_store_dwordx2 v[8:9], v[4:5], off
	v_mov_b32_e32 v2, s10
	v_mov_b32_e32 v3, s11
	buffer_wbl2
	s_waitcnt vmcnt(0)
	global_atomic_cmpswap_x2 v[2:3], v31, v[2:5], s[2:3] offset:32 glc
	s_waitcnt vmcnt(0)
	v_cmp_eq_u64_e32 vcc, v[2:3], v[4:5]
	s_or_b64 s[16:17], vcc, s[16:17]
	v_pk_mov_b32 v[4:5], v[2:3], v[2:3] op_sel:[0,1]
	s_andn2_b64 exec, exec, s[16:17]
	s_cbranch_execnz .LBB8_727
.LBB8_728:                              ;   in Loop: Header=BB8_661 Depth=1
	s_or_b64 exec, exec, s[14:15]
	global_load_dwordx2 v[2:3], v31, s[2:3] offset:16
	s_mov_b64 s[16:17], exec
	v_mbcnt_lo_u32_b32 v4, s16, 0
	v_mbcnt_hi_u32_b32 v4, s17, v4
	v_cmp_eq_u32_e32 vcc, 0, v4
	s_and_saveexec_b64 s[14:15], vcc
	s_cbranch_execz .LBB8_730
; %bb.729:                              ;   in Loop: Header=BB8_661 Depth=1
	s_bcnt1_i32_b64 s16, s[16:17]
	v_mov_b32_e32 v30, s16
	buffer_wbl2
	s_waitcnt vmcnt(0)
	global_atomic_add_x2 v[2:3], v[30:31], off offset:8
.LBB8_730:                              ;   in Loop: Header=BB8_661 Depth=1
	s_or_b64 exec, exec, s[14:15]
	s_waitcnt vmcnt(0)
	global_load_dwordx2 v[4:5], v[2:3], off offset:16
	s_waitcnt vmcnt(0)
	v_cmp_eq_u64_e32 vcc, 0, v[4:5]
	s_cbranch_vccnz .LBB8_732
; %bb.731:                              ;   in Loop: Header=BB8_661 Depth=1
	global_load_dword v30, v[2:3], off offset:24
	s_waitcnt vmcnt(0)
	v_and_b32_e32 v2, 0xffffff, v30
	v_readfirstlane_b32 m0, v2
	buffer_wbl2
	global_store_dwordx2 v[4:5], v[30:31], off
	s_sendmsg sendmsg(MSG_INTERRUPT)
.LBB8_732:                              ;   in Loop: Header=BB8_661 Depth=1
	s_or_b64 exec, exec, s[12:13]
	v_add_co_u32_e32 v2, vcc, v26, v34
	v_addc_co_u32_e32 v3, vcc, 0, v27, vcc
	s_branch .LBB8_736
.LBB8_733:                              ;   in Loop: Header=BB8_736 Depth=2
	s_or_b64 exec, exec, s[12:13]
	v_readfirstlane_b32 s12, v4
	s_cmp_eq_u32 s12, 0
	s_cbranch_scc1 .LBB8_735
; %bb.734:                              ;   in Loop: Header=BB8_736 Depth=2
	s_sleep 1
	s_cbranch_execnz .LBB8_736
	s_branch .LBB8_738
.LBB8_735:                              ;   in Loop: Header=BB8_661 Depth=1
	s_branch .LBB8_738
.LBB8_736:                              ;   Parent Loop BB8_661 Depth=1
                                        ; =>  This Inner Loop Header: Depth=2
	v_mov_b32_e32 v4, 1
	s_and_saveexec_b64 s[12:13], s[0:1]
	s_cbranch_execz .LBB8_733
; %bb.737:                              ;   in Loop: Header=BB8_736 Depth=2
	global_load_dword v4, v[32:33], off offset:20 glc
	s_waitcnt vmcnt(0)
	buffer_invl2
	buffer_wbinvl1_vol
	v_and_b32_e32 v4, 1, v4
	s_branch .LBB8_733
.LBB8_738:                              ;   in Loop: Header=BB8_661 Depth=1
	global_load_dwordx4 v[2:5], v[2:3], off
	s_and_saveexec_b64 s[12:13], s[0:1]
	s_cbranch_execz .LBB8_660
; %bb.739:                              ;   in Loop: Header=BB8_661 Depth=1
	global_load_dwordx2 v[4:5], v31, s[2:3] offset:40
	global_load_dwordx2 v[12:13], v31, s[2:3] offset:24 glc
	global_load_dwordx2 v[14:15], v31, s[2:3]
	v_mov_b32_e32 v9, s11
	s_waitcnt vmcnt(2)
	v_add_co_u32_e32 v11, vcc, 1, v4
	v_addc_co_u32_e32 v16, vcc, 0, v5, vcc
	v_add_co_u32_e32 v8, vcc, s10, v11
	v_addc_co_u32_e32 v9, vcc, v16, v9, vcc
	v_cmp_eq_u64_e32 vcc, 0, v[8:9]
	v_cndmask_b32_e32 v9, v9, v16, vcc
	v_cndmask_b32_e32 v8, v8, v11, vcc
	v_and_b32_e32 v5, v9, v5
	v_and_b32_e32 v4, v8, v4
	v_mul_lo_u32 v5, v5, 24
	v_mul_hi_u32 v11, v4, 24
	v_mul_lo_u32 v4, v4, 24
	v_add_u32_e32 v5, v11, v5
	s_waitcnt vmcnt(0)
	v_add_co_u32_e32 v4, vcc, v14, v4
	v_addc_co_u32_e32 v5, vcc, v15, v5, vcc
	v_mov_b32_e32 v10, v12
	global_store_dwordx2 v[4:5], v[12:13], off
	v_mov_b32_e32 v11, v13
	buffer_wbl2
	s_waitcnt vmcnt(0)
	global_atomic_cmpswap_x2 v[10:11], v31, v[8:11], s[2:3] offset:24 glc
	s_waitcnt vmcnt(0)
	v_cmp_ne_u64_e32 vcc, v[10:11], v[12:13]
	s_and_b64 exec, exec, vcc
	s_cbranch_execz .LBB8_660
; %bb.740:                              ;   in Loop: Header=BB8_661 Depth=1
	s_mov_b64 s[0:1], 0
.LBB8_741:                              ;   Parent Loop BB8_661 Depth=1
                                        ; =>  This Inner Loop Header: Depth=2
	s_sleep 1
	global_store_dwordx2 v[4:5], v[10:11], off
	buffer_wbl2
	s_waitcnt vmcnt(0)
	global_atomic_cmpswap_x2 v[12:13], v31, v[8:11], s[2:3] offset:24 glc
	s_waitcnt vmcnt(0)
	v_cmp_eq_u64_e32 vcc, v[12:13], v[10:11]
	s_or_b64 s[0:1], vcc, s[0:1]
	v_pk_mov_b32 v[10:11], v[12:13], v[12:13] op_sel:[0,1]
	s_andn2_b64 exec, exec, s[0:1]
	s_cbranch_execnz .LBB8_741
	s_branch .LBB8_660
.LBB8_742:
	s_branch .LBB8_797
.LBB8_743:
                                        ; implicit-def: $vgpr0_vgpr1
	s_cbranch_execz .LBB8_658
; %bb.744:
	v_readfirstlane_b32 s0, v35
	v_cmp_eq_u32_e64 s[0:1], s0, v35
	v_pk_mov_b32 v[8:9], 0, 0
	s_and_saveexec_b64 s[4:5], s[0:1]
	s_cbranch_execz .LBB8_750
; %bb.745:
	s_waitcnt vmcnt(0)
	v_mov_b32_e32 v0, 0
	global_load_dwordx2 v[10:11], v0, s[2:3] offset:24 glc
	s_waitcnt vmcnt(0)
	buffer_invl2
	buffer_wbinvl1_vol
	global_load_dwordx2 v[2:3], v0, s[2:3] offset:40
	global_load_dwordx2 v[6:7], v0, s[2:3]
	s_waitcnt vmcnt(1)
	v_and_b32_e32 v1, v2, v10
	v_and_b32_e32 v2, v3, v11
	v_mul_lo_u32 v2, v2, 24
	v_mul_hi_u32 v3, v1, 24
	v_mul_lo_u32 v1, v1, 24
	v_add_u32_e32 v3, v3, v2
	s_waitcnt vmcnt(0)
	v_add_co_u32_e32 v2, vcc, v6, v1
	v_addc_co_u32_e32 v3, vcc, v7, v3, vcc
	global_load_dwordx2 v[8:9], v[2:3], off glc
	s_waitcnt vmcnt(0)
	global_atomic_cmpswap_x2 v[8:9], v0, v[8:11], s[2:3] offset:24 glc
	s_waitcnt vmcnt(0)
	buffer_invl2
	buffer_wbinvl1_vol
	v_cmp_ne_u64_e32 vcc, v[8:9], v[10:11]
	s_and_saveexec_b64 s[8:9], vcc
	s_cbranch_execz .LBB8_749
; %bb.746:
	s_mov_b64 s[10:11], 0
.LBB8_747:                              ; =>This Inner Loop Header: Depth=1
	s_sleep 1
	global_load_dwordx2 v[2:3], v0, s[2:3] offset:40
	global_load_dwordx2 v[6:7], v0, s[2:3]
	v_pk_mov_b32 v[10:11], v[8:9], v[8:9] op_sel:[0,1]
	s_waitcnt vmcnt(1)
	v_and_b32_e32 v2, v2, v10
	v_and_b32_e32 v1, v3, v11
	s_waitcnt vmcnt(0)
	v_mad_u64_u32 v[2:3], s[12:13], v2, 24, v[6:7]
	v_mov_b32_e32 v6, v3
	v_mad_u64_u32 v[6:7], s[12:13], v1, 24, v[6:7]
	v_mov_b32_e32 v3, v6
	global_load_dwordx2 v[8:9], v[2:3], off glc
	s_waitcnt vmcnt(0)
	global_atomic_cmpswap_x2 v[8:9], v0, v[8:11], s[2:3] offset:24 glc
	s_waitcnt vmcnt(0)
	buffer_invl2
	buffer_wbinvl1_vol
	v_cmp_eq_u64_e32 vcc, v[8:9], v[10:11]
	s_or_b64 s[10:11], vcc, s[10:11]
	s_andn2_b64 exec, exec, s[10:11]
	s_cbranch_execnz .LBB8_747
; %bb.748:
	s_or_b64 exec, exec, s[10:11]
.LBB8_749:
	s_or_b64 exec, exec, s[8:9]
.LBB8_750:
	s_or_b64 exec, exec, s[4:5]
	v_mov_b32_e32 v6, 0
	global_load_dwordx2 v[10:11], v6, s[2:3] offset:40
	global_load_dwordx4 v[0:3], v6, s[2:3]
	v_readfirstlane_b32 s4, v8
	v_readfirstlane_b32 s5, v9
	s_mov_b64 s[8:9], exec
	s_waitcnt vmcnt(1)
	v_readfirstlane_b32 s10, v10
	v_readfirstlane_b32 s11, v11
	s_and_b64 s[10:11], s[4:5], s[10:11]
	s_mul_i32 s12, s11, 24
	s_mul_hi_u32 s13, s10, 24
	s_mul_i32 s14, s10, 24
	s_add_i32 s12, s13, s12
	v_mov_b32_e32 v7, s12
	s_waitcnt vmcnt(0)
	v_add_co_u32_e32 v8, vcc, s14, v0
	v_addc_co_u32_e32 v9, vcc, v1, v7, vcc
	s_and_saveexec_b64 s[12:13], s[0:1]
	s_cbranch_execz .LBB8_752
; %bb.751:
	v_pk_mov_b32 v[10:11], s[8:9], s[8:9] op_sel:[0,1]
	v_mov_b32_e32 v12, 2
	v_mov_b32_e32 v13, 1
	global_store_dwordx4 v[8:9], v[10:13], off offset:8
.LBB8_752:
	s_or_b64 exec, exec, s[12:13]
	s_lshl_b64 s[8:9], s[10:11], 12
	v_mov_b32_e32 v7, s9
	v_add_co_u32_e32 v2, vcc, s8, v2
	s_movk_i32 s8, 0xff1f
	v_addc_co_u32_e32 v3, vcc, v3, v7, vcc
	v_and_or_b32 v4, v4, s8, 32
	s_mov_b32 s8, 0
	v_add_co_u32_e32 v10, vcc, v2, v34
	v_mov_b32_e32 v7, v6
	v_readfirstlane_b32 s12, v2
	v_readfirstlane_b32 s13, v3
	s_mov_b32 s9, s8
	v_addc_co_u32_e32 v11, vcc, 0, v3, vcc
	s_mov_b32 s10, s8
	s_mov_b32 s11, s8
	s_nop 0
	global_store_dwordx4 v34, v[4:7], s[12:13]
	v_pk_mov_b32 v[2:3], s[8:9], s[8:9] op_sel:[0,1]
	v_pk_mov_b32 v[4:5], s[10:11], s[10:11] op_sel:[0,1]
	global_store_dwordx4 v34, v[2:5], s[12:13] offset:16
	global_store_dwordx4 v34, v[2:5], s[12:13] offset:32
	;; [unrolled: 1-line block ×3, first 2 shown]
	s_and_saveexec_b64 s[8:9], s[0:1]
	s_cbranch_execz .LBB8_760
; %bb.753:
	v_mov_b32_e32 v6, 0
	global_load_dwordx2 v[14:15], v6, s[2:3] offset:32 glc
	global_load_dwordx2 v[2:3], v6, s[2:3] offset:40
	v_mov_b32_e32 v12, s4
	v_mov_b32_e32 v13, s5
	s_waitcnt vmcnt(0)
	v_readfirstlane_b32 s10, v2
	v_readfirstlane_b32 s11, v3
	s_and_b64 s[10:11], s[10:11], s[4:5]
	s_mul_i32 s11, s11, 24
	s_mul_hi_u32 s12, s10, 24
	s_mul_i32 s10, s10, 24
	s_add_i32 s11, s12, s11
	v_mov_b32_e32 v2, s11
	v_add_co_u32_e32 v4, vcc, s10, v0
	v_addc_co_u32_e32 v5, vcc, v1, v2, vcc
	global_store_dwordx2 v[4:5], v[14:15], off
	buffer_wbl2
	s_waitcnt vmcnt(0)
	global_atomic_cmpswap_x2 v[2:3], v6, v[12:15], s[2:3] offset:32 glc
	s_waitcnt vmcnt(0)
	v_cmp_ne_u64_e32 vcc, v[2:3], v[14:15]
	s_and_saveexec_b64 s[10:11], vcc
	s_cbranch_execz .LBB8_756
; %bb.754:
	s_mov_b64 s[12:13], 0
.LBB8_755:                              ; =>This Inner Loop Header: Depth=1
	s_sleep 1
	global_store_dwordx2 v[4:5], v[2:3], off
	v_mov_b32_e32 v0, s4
	v_mov_b32_e32 v1, s5
	buffer_wbl2
	s_waitcnt vmcnt(0)
	global_atomic_cmpswap_x2 v[0:1], v6, v[0:3], s[2:3] offset:32 glc
	s_waitcnt vmcnt(0)
	v_cmp_eq_u64_e32 vcc, v[0:1], v[2:3]
	s_or_b64 s[12:13], vcc, s[12:13]
	v_pk_mov_b32 v[2:3], v[0:1], v[0:1] op_sel:[0,1]
	s_andn2_b64 exec, exec, s[12:13]
	s_cbranch_execnz .LBB8_755
.LBB8_756:
	s_or_b64 exec, exec, s[10:11]
	v_mov_b32_e32 v3, 0
	global_load_dwordx2 v[0:1], v3, s[2:3] offset:16
	s_mov_b64 s[10:11], exec
	v_mbcnt_lo_u32_b32 v2, s10, 0
	v_mbcnt_hi_u32_b32 v2, s11, v2
	v_cmp_eq_u32_e32 vcc, 0, v2
	s_and_saveexec_b64 s[12:13], vcc
	s_cbranch_execz .LBB8_758
; %bb.757:
	s_bcnt1_i32_b64 s10, s[10:11]
	v_mov_b32_e32 v2, s10
	buffer_wbl2
	s_waitcnt vmcnt(0)
	global_atomic_add_x2 v[0:1], v[2:3], off offset:8
.LBB8_758:
	s_or_b64 exec, exec, s[12:13]
	s_waitcnt vmcnt(0)
	global_load_dwordx2 v[2:3], v[0:1], off offset:16
	s_waitcnt vmcnt(0)
	v_cmp_eq_u64_e32 vcc, 0, v[2:3]
	s_cbranch_vccnz .LBB8_760
; %bb.759:
	global_load_dword v0, v[0:1], off offset:24
	v_mov_b32_e32 v1, 0
	buffer_wbl2
	s_waitcnt vmcnt(0)
	global_store_dwordx2 v[2:3], v[0:1], off
	v_and_b32_e32 v0, 0xffffff, v0
	v_readfirstlane_b32 m0, v0
	s_sendmsg sendmsg(MSG_INTERRUPT)
.LBB8_760:
	s_or_b64 exec, exec, s[8:9]
	s_branch .LBB8_764
.LBB8_761:                              ;   in Loop: Header=BB8_764 Depth=1
	s_or_b64 exec, exec, s[8:9]
	v_readfirstlane_b32 s8, v0
	s_cmp_eq_u32 s8, 0
	s_cbranch_scc1 .LBB8_763
; %bb.762:                              ;   in Loop: Header=BB8_764 Depth=1
	s_sleep 1
	s_cbranch_execnz .LBB8_764
	s_branch .LBB8_766
.LBB8_763:
	s_branch .LBB8_766
.LBB8_764:                              ; =>This Inner Loop Header: Depth=1
	v_mov_b32_e32 v0, 1
	s_and_saveexec_b64 s[8:9], s[0:1]
	s_cbranch_execz .LBB8_761
; %bb.765:                              ;   in Loop: Header=BB8_764 Depth=1
	global_load_dword v0, v[8:9], off offset:20 glc
	s_waitcnt vmcnt(0)
	buffer_invl2
	buffer_wbinvl1_vol
	v_and_b32_e32 v0, 1, v0
	s_branch .LBB8_761
.LBB8_766:
	global_load_dwordx2 v[0:1], v[10:11], off
	s_and_saveexec_b64 s[8:9], s[0:1]
	s_cbranch_execz .LBB8_769
; %bb.767:
	v_mov_b32_e32 v8, 0
	global_load_dwordx2 v[6:7], v8, s[2:3] offset:40
	global_load_dwordx2 v[10:11], v8, s[2:3] offset:24 glc
	global_load_dwordx2 v[12:13], v8, s[2:3]
	v_mov_b32_e32 v3, s5
	s_mov_b64 s[0:1], 0
	s_waitcnt vmcnt(2)
	v_add_co_u32_e32 v5, vcc, 1, v6
	v_addc_co_u32_e32 v9, vcc, 0, v7, vcc
	v_add_co_u32_e32 v2, vcc, s4, v5
	v_addc_co_u32_e32 v3, vcc, v9, v3, vcc
	v_cmp_eq_u64_e32 vcc, 0, v[2:3]
	v_cndmask_b32_e32 v3, v3, v9, vcc
	v_cndmask_b32_e32 v2, v2, v5, vcc
	v_and_b32_e32 v5, v3, v7
	v_and_b32_e32 v6, v2, v6
	v_mul_lo_u32 v5, v5, 24
	v_mul_hi_u32 v7, v6, 24
	v_mul_lo_u32 v6, v6, 24
	v_add_u32_e32 v5, v7, v5
	s_waitcnt vmcnt(0)
	v_add_co_u32_e32 v6, vcc, v12, v6
	v_addc_co_u32_e32 v7, vcc, v13, v5, vcc
	v_mov_b32_e32 v4, v10
	global_store_dwordx2 v[6:7], v[10:11], off
	v_mov_b32_e32 v5, v11
	buffer_wbl2
	s_waitcnt vmcnt(0)
	global_atomic_cmpswap_x2 v[4:5], v8, v[2:5], s[2:3] offset:24 glc
	s_waitcnt vmcnt(0)
	v_cmp_ne_u64_e32 vcc, v[4:5], v[10:11]
	s_and_b64 exec, exec, vcc
	s_cbranch_execz .LBB8_769
.LBB8_768:                              ; =>This Inner Loop Header: Depth=1
	s_sleep 1
	global_store_dwordx2 v[6:7], v[4:5], off
	buffer_wbl2
	s_waitcnt vmcnt(0)
	global_atomic_cmpswap_x2 v[10:11], v8, v[2:5], s[2:3] offset:24 glc
	s_waitcnt vmcnt(0)
	v_cmp_eq_u64_e32 vcc, v[10:11], v[4:5]
	s_or_b64 s[0:1], vcc, s[0:1]
	v_pk_mov_b32 v[4:5], v[10:11], v[10:11] op_sel:[0,1]
	s_andn2_b64 exec, exec, s[0:1]
	s_cbranch_execnz .LBB8_768
.LBB8_769:
	s_or_b64 exec, exec, s[8:9]
	s_and_b64 vcc, exec, s[6:7]
	s_cbranch_vccnz .LBB8_659
.LBB8_770:
                                        ; implicit-def: $vgpr2_vgpr3
	s_cbranch_execz .LBB8_797
; %bb.771:
	v_readfirstlane_b32 s0, v35
	v_cmp_eq_u32_e64 s[0:1], s0, v35
	v_pk_mov_b32 v[8:9], 0, 0
	s_and_saveexec_b64 s[4:5], s[0:1]
	s_cbranch_execz .LBB8_777
; %bb.772:
	s_waitcnt vmcnt(0)
	v_mov_b32_e32 v2, 0
	global_load_dwordx2 v[6:7], v2, s[2:3] offset:24 glc
	s_waitcnt vmcnt(0)
	buffer_invl2
	buffer_wbinvl1_vol
	global_load_dwordx2 v[4:5], v2, s[2:3] offset:40
	global_load_dwordx2 v[8:9], v2, s[2:3]
	s_waitcnt vmcnt(1)
	v_and_b32_e32 v3, v4, v6
	v_and_b32_e32 v4, v5, v7
	v_mul_lo_u32 v4, v4, 24
	v_mul_hi_u32 v5, v3, 24
	v_mul_lo_u32 v3, v3, 24
	v_add_u32_e32 v5, v5, v4
	s_waitcnt vmcnt(0)
	v_add_co_u32_e32 v4, vcc, v8, v3
	v_addc_co_u32_e32 v5, vcc, v9, v5, vcc
	global_load_dwordx2 v[4:5], v[4:5], off glc
	s_waitcnt vmcnt(0)
	global_atomic_cmpswap_x2 v[8:9], v2, v[4:7], s[2:3] offset:24 glc
	s_waitcnt vmcnt(0)
	buffer_invl2
	buffer_wbinvl1_vol
	v_cmp_ne_u64_e32 vcc, v[8:9], v[6:7]
	s_and_saveexec_b64 s[6:7], vcc
	s_cbranch_execz .LBB8_776
; %bb.773:
	s_mov_b64 s[8:9], 0
.LBB8_774:                              ; =>This Inner Loop Header: Depth=1
	s_sleep 1
	global_load_dwordx2 v[4:5], v2, s[2:3] offset:40
	global_load_dwordx2 v[10:11], v2, s[2:3]
	v_pk_mov_b32 v[6:7], v[8:9], v[8:9] op_sel:[0,1]
	s_waitcnt vmcnt(1)
	v_and_b32_e32 v4, v4, v6
	v_and_b32_e32 v3, v5, v7
	s_waitcnt vmcnt(0)
	v_mad_u64_u32 v[4:5], s[10:11], v4, 24, v[10:11]
	v_mov_b32_e32 v8, v5
	v_mad_u64_u32 v[8:9], s[10:11], v3, 24, v[8:9]
	v_mov_b32_e32 v5, v8
	global_load_dwordx2 v[4:5], v[4:5], off glc
	s_waitcnt vmcnt(0)
	global_atomic_cmpswap_x2 v[8:9], v2, v[4:7], s[2:3] offset:24 glc
	s_waitcnt vmcnt(0)
	buffer_invl2
	buffer_wbinvl1_vol
	v_cmp_eq_u64_e32 vcc, v[8:9], v[6:7]
	s_or_b64 s[8:9], vcc, s[8:9]
	s_andn2_b64 exec, exec, s[8:9]
	s_cbranch_execnz .LBB8_774
; %bb.775:
	s_or_b64 exec, exec, s[8:9]
.LBB8_776:
	s_or_b64 exec, exec, s[6:7]
.LBB8_777:
	s_or_b64 exec, exec, s[4:5]
	s_waitcnt vmcnt(0)
	v_mov_b32_e32 v2, 0
	global_load_dwordx2 v[10:11], v2, s[2:3] offset:40
	global_load_dwordx4 v[4:7], v2, s[2:3]
	v_readfirstlane_b32 s4, v8
	v_readfirstlane_b32 s5, v9
	s_mov_b64 s[6:7], exec
	s_waitcnt vmcnt(1)
	v_readfirstlane_b32 s8, v10
	v_readfirstlane_b32 s9, v11
	s_and_b64 s[8:9], s[4:5], s[8:9]
	s_mul_i32 s10, s9, 24
	s_mul_hi_u32 s11, s8, 24
	s_mul_i32 s12, s8, 24
	s_add_i32 s10, s11, s10
	v_mov_b32_e32 v3, s10
	s_waitcnt vmcnt(0)
	v_add_co_u32_e32 v8, vcc, s12, v4
	v_addc_co_u32_e32 v9, vcc, v5, v3, vcc
	s_and_saveexec_b64 s[10:11], s[0:1]
	s_cbranch_execz .LBB8_779
; %bb.778:
	v_pk_mov_b32 v[10:11], s[6:7], s[6:7] op_sel:[0,1]
	v_mov_b32_e32 v12, 2
	v_mov_b32_e32 v13, 1
	global_store_dwordx4 v[8:9], v[10:13], off offset:8
.LBB8_779:
	s_or_b64 exec, exec, s[10:11]
	s_lshl_b64 s[6:7], s[8:9], 12
	v_mov_b32_e32 v3, s7
	v_add_co_u32_e32 v10, vcc, s6, v6
	v_addc_co_u32_e32 v11, vcc, v7, v3, vcc
	s_movk_i32 s6, 0xff1f
	s_mov_b32 s8, 0
	v_and_or_b32 v0, v0, s6, 32
	v_mov_b32_e32 v3, v2
	v_readfirstlane_b32 s6, v10
	v_readfirstlane_b32 s7, v11
	s_mov_b32 s9, s8
	v_add_co_u32_e32 v6, vcc, v10, v34
	s_mov_b32 s10, s8
	s_mov_b32 s11, s8
	s_nop 0
	global_store_dwordx4 v34, v[0:3], s[6:7]
	v_addc_co_u32_e32 v7, vcc, 0, v11, vcc
	v_pk_mov_b32 v[0:1], s[8:9], s[8:9] op_sel:[0,1]
	v_pk_mov_b32 v[2:3], s[10:11], s[10:11] op_sel:[0,1]
	global_store_dwordx4 v34, v[0:3], s[6:7] offset:16
	global_store_dwordx4 v34, v[0:3], s[6:7] offset:32
	;; [unrolled: 1-line block ×3, first 2 shown]
	s_and_saveexec_b64 s[6:7], s[0:1]
	s_cbranch_execz .LBB8_787
; %bb.780:
	v_mov_b32_e32 v10, 0
	global_load_dwordx2 v[14:15], v10, s[2:3] offset:32 glc
	global_load_dwordx2 v[0:1], v10, s[2:3] offset:40
	v_mov_b32_e32 v12, s4
	v_mov_b32_e32 v13, s5
	s_waitcnt vmcnt(0)
	v_readfirstlane_b32 s8, v0
	v_readfirstlane_b32 s9, v1
	s_and_b64 s[8:9], s[8:9], s[4:5]
	s_mul_i32 s9, s9, 24
	s_mul_hi_u32 s10, s8, 24
	s_mul_i32 s8, s8, 24
	s_add_i32 s9, s10, s9
	v_mov_b32_e32 v0, s9
	v_add_co_u32_e32 v4, vcc, s8, v4
	v_addc_co_u32_e32 v5, vcc, v5, v0, vcc
	global_store_dwordx2 v[4:5], v[14:15], off
	buffer_wbl2
	s_waitcnt vmcnt(0)
	global_atomic_cmpswap_x2 v[2:3], v10, v[12:15], s[2:3] offset:32 glc
	s_waitcnt vmcnt(0)
	v_cmp_ne_u64_e32 vcc, v[2:3], v[14:15]
	s_and_saveexec_b64 s[8:9], vcc
	s_cbranch_execz .LBB8_783
; %bb.781:
	s_mov_b64 s[10:11], 0
.LBB8_782:                              ; =>This Inner Loop Header: Depth=1
	s_sleep 1
	global_store_dwordx2 v[4:5], v[2:3], off
	v_mov_b32_e32 v0, s4
	v_mov_b32_e32 v1, s5
	buffer_wbl2
	s_waitcnt vmcnt(0)
	global_atomic_cmpswap_x2 v[0:1], v10, v[0:3], s[2:3] offset:32 glc
	s_waitcnt vmcnt(0)
	v_cmp_eq_u64_e32 vcc, v[0:1], v[2:3]
	s_or_b64 s[10:11], vcc, s[10:11]
	v_pk_mov_b32 v[2:3], v[0:1], v[0:1] op_sel:[0,1]
	s_andn2_b64 exec, exec, s[10:11]
	s_cbranch_execnz .LBB8_782
.LBB8_783:
	s_or_b64 exec, exec, s[8:9]
	v_mov_b32_e32 v3, 0
	global_load_dwordx2 v[0:1], v3, s[2:3] offset:16
	s_mov_b64 s[8:9], exec
	v_mbcnt_lo_u32_b32 v2, s8, 0
	v_mbcnt_hi_u32_b32 v2, s9, v2
	v_cmp_eq_u32_e32 vcc, 0, v2
	s_and_saveexec_b64 s[10:11], vcc
	s_cbranch_execz .LBB8_785
; %bb.784:
	s_bcnt1_i32_b64 s8, s[8:9]
	v_mov_b32_e32 v2, s8
	buffer_wbl2
	s_waitcnt vmcnt(0)
	global_atomic_add_x2 v[0:1], v[2:3], off offset:8
.LBB8_785:
	s_or_b64 exec, exec, s[10:11]
	s_waitcnt vmcnt(0)
	global_load_dwordx2 v[2:3], v[0:1], off offset:16
	s_waitcnt vmcnt(0)
	v_cmp_eq_u64_e32 vcc, 0, v[2:3]
	s_cbranch_vccnz .LBB8_787
; %bb.786:
	global_load_dword v0, v[0:1], off offset:24
	v_mov_b32_e32 v1, 0
	buffer_wbl2
	s_waitcnt vmcnt(0)
	global_store_dwordx2 v[2:3], v[0:1], off
	v_and_b32_e32 v0, 0xffffff, v0
	v_readfirstlane_b32 m0, v0
	s_sendmsg sendmsg(MSG_INTERRUPT)
.LBB8_787:
	s_or_b64 exec, exec, s[6:7]
	s_branch .LBB8_791
.LBB8_788:                              ;   in Loop: Header=BB8_791 Depth=1
	s_or_b64 exec, exec, s[6:7]
	v_readfirstlane_b32 s6, v0
	s_cmp_eq_u32 s6, 0
	s_cbranch_scc1 .LBB8_790
; %bb.789:                              ;   in Loop: Header=BB8_791 Depth=1
	s_sleep 1
	s_cbranch_execnz .LBB8_791
	s_branch .LBB8_793
.LBB8_790:
	s_branch .LBB8_793
.LBB8_791:                              ; =>This Inner Loop Header: Depth=1
	v_mov_b32_e32 v0, 1
	s_and_saveexec_b64 s[6:7], s[0:1]
	s_cbranch_execz .LBB8_788
; %bb.792:                              ;   in Loop: Header=BB8_791 Depth=1
	global_load_dword v0, v[8:9], off offset:20 glc
	s_waitcnt vmcnt(0)
	buffer_invl2
	buffer_wbinvl1_vol
	v_and_b32_e32 v0, 1, v0
	s_branch .LBB8_788
.LBB8_793:
	global_load_dwordx2 v[2:3], v[6:7], off
	s_and_saveexec_b64 s[6:7], s[0:1]
	s_cbranch_execz .LBB8_796
; %bb.794:
	v_mov_b32_e32 v8, 0
	global_load_dwordx2 v[0:1], v8, s[2:3] offset:40
	global_load_dwordx2 v[10:11], v8, s[2:3] offset:24 glc
	global_load_dwordx2 v[12:13], v8, s[2:3]
	v_mov_b32_e32 v5, s5
	s_mov_b64 s[0:1], 0
	s_waitcnt vmcnt(2)
	v_add_co_u32_e32 v7, vcc, 1, v0
	v_addc_co_u32_e32 v9, vcc, 0, v1, vcc
	v_add_co_u32_e32 v4, vcc, s4, v7
	v_addc_co_u32_e32 v5, vcc, v9, v5, vcc
	v_cmp_eq_u64_e32 vcc, 0, v[4:5]
	v_cndmask_b32_e32 v5, v5, v9, vcc
	v_cndmask_b32_e32 v4, v4, v7, vcc
	v_and_b32_e32 v1, v5, v1
	v_and_b32_e32 v0, v4, v0
	v_mul_lo_u32 v1, v1, 24
	v_mul_hi_u32 v7, v0, 24
	v_mul_lo_u32 v0, v0, 24
	v_add_u32_e32 v1, v7, v1
	s_waitcnt vmcnt(0)
	v_add_co_u32_e32 v0, vcc, v12, v0
	v_addc_co_u32_e32 v1, vcc, v13, v1, vcc
	v_mov_b32_e32 v6, v10
	global_store_dwordx2 v[0:1], v[10:11], off
	v_mov_b32_e32 v7, v11
	buffer_wbl2
	s_waitcnt vmcnt(0)
	global_atomic_cmpswap_x2 v[6:7], v8, v[4:7], s[2:3] offset:24 glc
	s_waitcnt vmcnt(0)
	v_cmp_ne_u64_e32 vcc, v[6:7], v[10:11]
	s_and_b64 exec, exec, vcc
	s_cbranch_execz .LBB8_796
.LBB8_795:                              ; =>This Inner Loop Header: Depth=1
	s_sleep 1
	global_store_dwordx2 v[0:1], v[6:7], off
	buffer_wbl2
	s_waitcnt vmcnt(0)
	global_atomic_cmpswap_x2 v[10:11], v8, v[4:7], s[2:3] offset:24 glc
	s_waitcnt vmcnt(0)
	v_cmp_eq_u64_e32 vcc, v[10:11], v[6:7]
	s_or_b64 s[0:1], vcc, s[0:1]
	v_pk_mov_b32 v[6:7], v[10:11], v[10:11] op_sel:[0,1]
	s_andn2_b64 exec, exec, s[0:1]
	s_cbranch_execnz .LBB8_795
.LBB8_796:
	s_or_b64 exec, exec, s[6:7]
.LBB8_797:
	v_readfirstlane_b32 s0, v35
	v_cmp_eq_u32_e64 s[0:1], s0, v35
	s_waitcnt vmcnt(0)
	v_pk_mov_b32 v[0:1], 0, 0
	s_and_saveexec_b64 s[4:5], s[0:1]
	s_cbranch_execz .LBB8_803
; %bb.798:
	v_mov_b32_e32 v4, 0
	global_load_dwordx2 v[8:9], v4, s[2:3] offset:24 glc
	s_waitcnt vmcnt(0)
	buffer_invl2
	buffer_wbinvl1_vol
	global_load_dwordx2 v[0:1], v4, s[2:3] offset:40
	global_load_dwordx2 v[6:7], v4, s[2:3]
	s_waitcnt vmcnt(1)
	v_and_b32_e32 v0, v0, v8
	v_and_b32_e32 v1, v1, v9
	v_mul_lo_u32 v1, v1, 24
	v_mul_hi_u32 v5, v0, 24
	v_mul_lo_u32 v0, v0, 24
	v_add_u32_e32 v1, v5, v1
	s_waitcnt vmcnt(0)
	v_add_co_u32_e32 v0, vcc, v6, v0
	v_addc_co_u32_e32 v1, vcc, v7, v1, vcc
	global_load_dwordx2 v[6:7], v[0:1], off glc
	s_waitcnt vmcnt(0)
	global_atomic_cmpswap_x2 v[0:1], v4, v[6:9], s[2:3] offset:24 glc
	s_waitcnt vmcnt(0)
	buffer_invl2
	buffer_wbinvl1_vol
	v_cmp_ne_u64_e32 vcc, v[0:1], v[8:9]
	s_and_saveexec_b64 s[6:7], vcc
	s_cbranch_execz .LBB8_802
; %bb.799:
	s_mov_b64 s[8:9], 0
.LBB8_800:                              ; =>This Inner Loop Header: Depth=1
	s_sleep 1
	global_load_dwordx2 v[6:7], v4, s[2:3] offset:40
	global_load_dwordx2 v[10:11], v4, s[2:3]
	v_pk_mov_b32 v[8:9], v[0:1], v[0:1] op_sel:[0,1]
	s_waitcnt vmcnt(1)
	v_and_b32_e32 v0, v6, v8
	s_waitcnt vmcnt(0)
	v_mad_u64_u32 v[0:1], s[10:11], v0, 24, v[10:11]
	v_and_b32_e32 v5, v7, v9
	v_mov_b32_e32 v6, v1
	v_mad_u64_u32 v[6:7], s[10:11], v5, 24, v[6:7]
	v_mov_b32_e32 v1, v6
	global_load_dwordx2 v[6:7], v[0:1], off glc
	s_waitcnt vmcnt(0)
	global_atomic_cmpswap_x2 v[0:1], v4, v[6:9], s[2:3] offset:24 glc
	s_waitcnt vmcnt(0)
	buffer_invl2
	buffer_wbinvl1_vol
	v_cmp_eq_u64_e32 vcc, v[0:1], v[8:9]
	s_or_b64 s[8:9], vcc, s[8:9]
	s_andn2_b64 exec, exec, s[8:9]
	s_cbranch_execnz .LBB8_800
; %bb.801:
	s_or_b64 exec, exec, s[8:9]
.LBB8_802:
	s_or_b64 exec, exec, s[6:7]
.LBB8_803:
	s_or_b64 exec, exec, s[4:5]
	v_mov_b32_e32 v5, 0
	global_load_dwordx2 v[10:11], v5, s[2:3] offset:40
	global_load_dwordx4 v[6:9], v5, s[2:3]
	v_readfirstlane_b32 s4, v0
	v_readfirstlane_b32 s5, v1
	s_mov_b64 s[6:7], exec
	s_waitcnt vmcnt(1)
	v_readfirstlane_b32 s8, v10
	v_readfirstlane_b32 s9, v11
	s_and_b64 s[8:9], s[4:5], s[8:9]
	s_mul_i32 s10, s9, 24
	s_mul_hi_u32 s11, s8, 24
	s_mul_i32 s12, s8, 24
	s_add_i32 s10, s11, s10
	v_mov_b32_e32 v0, s10
	s_waitcnt vmcnt(0)
	v_add_co_u32_e32 v10, vcc, s12, v6
	v_addc_co_u32_e32 v11, vcc, v7, v0, vcc
	s_and_saveexec_b64 s[10:11], s[0:1]
	s_cbranch_execz .LBB8_805
; %bb.804:
	v_pk_mov_b32 v[12:13], s[6:7], s[6:7] op_sel:[0,1]
	v_mov_b32_e32 v14, 2
	v_mov_b32_e32 v15, 1
	global_store_dwordx4 v[10:11], v[12:15], off offset:8
.LBB8_805:
	s_or_b64 exec, exec, s[10:11]
	s_lshl_b64 s[6:7], s[8:9], 12
	v_mov_b32_e32 v1, s7
	v_add_co_u32_e32 v0, vcc, s6, v8
	v_addc_co_u32_e32 v1, vcc, v9, v1, vcc
	s_movk_i32 s6, 0xff1d
	s_mov_b32 s8, 0
	v_and_or_b32 v2, v2, s6, 34
	v_mov_b32_e32 v4, 2
	v_readfirstlane_b32 s6, v0
	v_readfirstlane_b32 s7, v1
	s_mov_b32 s9, s8
	s_mov_b32 s10, s8
	;; [unrolled: 1-line block ×3, first 2 shown]
	s_nop 1
	global_store_dwordx4 v34, v[2:5], s[6:7]
	v_pk_mov_b32 v[0:1], s[8:9], s[8:9] op_sel:[0,1]
	v_pk_mov_b32 v[2:3], s[10:11], s[10:11] op_sel:[0,1]
	global_store_dwordx4 v34, v[0:3], s[6:7] offset:16
	global_store_dwordx4 v34, v[0:3], s[6:7] offset:32
	;; [unrolled: 1-line block ×3, first 2 shown]
	s_and_saveexec_b64 s[6:7], s[0:1]
	s_cbranch_execz .LBB8_813
; %bb.806:
	v_mov_b32_e32 v8, 0
	global_load_dwordx2 v[14:15], v8, s[2:3] offset:32 glc
	global_load_dwordx2 v[0:1], v8, s[2:3] offset:40
	v_mov_b32_e32 v12, s4
	v_mov_b32_e32 v13, s5
	s_waitcnt vmcnt(0)
	v_readfirstlane_b32 s8, v0
	v_readfirstlane_b32 s9, v1
	s_and_b64 s[8:9], s[8:9], s[4:5]
	s_mul_i32 s9, s9, 24
	s_mul_hi_u32 s10, s8, 24
	s_mul_i32 s8, s8, 24
	s_add_i32 s9, s10, s9
	v_mov_b32_e32 v0, s9
	v_add_co_u32_e32 v4, vcc, s8, v6
	v_addc_co_u32_e32 v5, vcc, v7, v0, vcc
	global_store_dwordx2 v[4:5], v[14:15], off
	buffer_wbl2
	s_waitcnt vmcnt(0)
	global_atomic_cmpswap_x2 v[2:3], v8, v[12:15], s[2:3] offset:32 glc
	s_waitcnt vmcnt(0)
	v_cmp_ne_u64_e32 vcc, v[2:3], v[14:15]
	s_and_saveexec_b64 s[8:9], vcc
	s_cbranch_execz .LBB8_809
; %bb.807:
	s_mov_b64 s[10:11], 0
.LBB8_808:                              ; =>This Inner Loop Header: Depth=1
	s_sleep 1
	global_store_dwordx2 v[4:5], v[2:3], off
	v_mov_b32_e32 v0, s4
	v_mov_b32_e32 v1, s5
	buffer_wbl2
	s_waitcnt vmcnt(0)
	global_atomic_cmpswap_x2 v[0:1], v8, v[0:3], s[2:3] offset:32 glc
	s_waitcnt vmcnt(0)
	v_cmp_eq_u64_e32 vcc, v[0:1], v[2:3]
	s_or_b64 s[10:11], vcc, s[10:11]
	v_pk_mov_b32 v[2:3], v[0:1], v[0:1] op_sel:[0,1]
	s_andn2_b64 exec, exec, s[10:11]
	s_cbranch_execnz .LBB8_808
.LBB8_809:
	s_or_b64 exec, exec, s[8:9]
	v_mov_b32_e32 v3, 0
	global_load_dwordx2 v[0:1], v3, s[2:3] offset:16
	s_mov_b64 s[8:9], exec
	v_mbcnt_lo_u32_b32 v2, s8, 0
	v_mbcnt_hi_u32_b32 v2, s9, v2
	v_cmp_eq_u32_e32 vcc, 0, v2
	s_and_saveexec_b64 s[10:11], vcc
	s_cbranch_execz .LBB8_811
; %bb.810:
	s_bcnt1_i32_b64 s8, s[8:9]
	v_mov_b32_e32 v2, s8
	buffer_wbl2
	s_waitcnt vmcnt(0)
	global_atomic_add_x2 v[0:1], v[2:3], off offset:8
.LBB8_811:
	s_or_b64 exec, exec, s[10:11]
	s_waitcnt vmcnt(0)
	global_load_dwordx2 v[2:3], v[0:1], off offset:16
	s_waitcnt vmcnt(0)
	v_cmp_eq_u64_e32 vcc, 0, v[2:3]
	s_cbranch_vccnz .LBB8_813
; %bb.812:
	global_load_dword v0, v[0:1], off offset:24
	v_mov_b32_e32 v1, 0
	buffer_wbl2
	s_waitcnt vmcnt(0)
	global_store_dwordx2 v[2:3], v[0:1], off
	v_and_b32_e32 v0, 0xffffff, v0
	v_readfirstlane_b32 m0, v0
	s_sendmsg sendmsg(MSG_INTERRUPT)
.LBB8_813:
	s_or_b64 exec, exec, s[6:7]
	s_branch .LBB8_817
.LBB8_814:                              ;   in Loop: Header=BB8_817 Depth=1
	s_or_b64 exec, exec, s[6:7]
	v_readfirstlane_b32 s6, v0
	s_cmp_eq_u32 s6, 0
	s_cbranch_scc1 .LBB8_816
; %bb.815:                              ;   in Loop: Header=BB8_817 Depth=1
	s_sleep 1
	s_cbranch_execnz .LBB8_817
	s_branch .LBB8_819
.LBB8_816:
	s_branch .LBB8_819
.LBB8_817:                              ; =>This Inner Loop Header: Depth=1
	v_mov_b32_e32 v0, 1
	s_and_saveexec_b64 s[6:7], s[0:1]
	s_cbranch_execz .LBB8_814
; %bb.818:                              ;   in Loop: Header=BB8_817 Depth=1
	global_load_dword v0, v[10:11], off offset:20 glc
	s_waitcnt vmcnt(0)
	buffer_invl2
	buffer_wbinvl1_vol
	v_and_b32_e32 v0, 1, v0
	s_branch .LBB8_814
.LBB8_819:
	s_and_saveexec_b64 s[6:7], s[0:1]
	s_cbranch_execz .LBB8_822
; %bb.820:
	v_mov_b32_e32 v6, 0
	global_load_dwordx2 v[4:5], v6, s[2:3] offset:40
	global_load_dwordx2 v[8:9], v6, s[2:3] offset:24 glc
	global_load_dwordx2 v[10:11], v6, s[2:3]
	v_mov_b32_e32 v1, s5
	s_mov_b64 s[0:1], 0
	s_waitcnt vmcnt(2)
	v_add_co_u32_e32 v3, vcc, 1, v4
	v_addc_co_u32_e32 v7, vcc, 0, v5, vcc
	v_add_co_u32_e32 v0, vcc, s4, v3
	v_addc_co_u32_e32 v1, vcc, v7, v1, vcc
	v_cmp_eq_u64_e32 vcc, 0, v[0:1]
	v_cndmask_b32_e32 v1, v1, v7, vcc
	v_cndmask_b32_e32 v0, v0, v3, vcc
	v_and_b32_e32 v3, v1, v5
	v_and_b32_e32 v4, v0, v4
	v_mul_lo_u32 v3, v3, 24
	v_mul_hi_u32 v5, v4, 24
	v_mul_lo_u32 v4, v4, 24
	v_add_u32_e32 v3, v5, v3
	s_waitcnt vmcnt(0)
	v_add_co_u32_e32 v4, vcc, v10, v4
	v_addc_co_u32_e32 v5, vcc, v11, v3, vcc
	v_mov_b32_e32 v2, v8
	global_store_dwordx2 v[4:5], v[8:9], off
	v_mov_b32_e32 v3, v9
	buffer_wbl2
	s_waitcnt vmcnt(0)
	global_atomic_cmpswap_x2 v[2:3], v6, v[0:3], s[2:3] offset:24 glc
	s_waitcnt vmcnt(0)
	v_cmp_ne_u64_e32 vcc, v[2:3], v[8:9]
	s_and_b64 exec, exec, vcc
	s_cbranch_execz .LBB8_822
.LBB8_821:                              ; =>This Inner Loop Header: Depth=1
	s_sleep 1
	global_store_dwordx2 v[4:5], v[2:3], off
	buffer_wbl2
	s_waitcnt vmcnt(0)
	global_atomic_cmpswap_x2 v[8:9], v6, v[0:3], s[2:3] offset:24 glc
	s_waitcnt vmcnt(0)
	v_cmp_eq_u64_e32 vcc, v[8:9], v[2:3]
	s_or_b64 s[0:1], vcc, s[0:1]
	v_pk_mov_b32 v[2:3], v[8:9], v[8:9] op_sel:[0,1]
	s_andn2_b64 exec, exec, s[0:1]
	s_cbranch_execnz .LBB8_821
.LBB8_822:
	s_endpgm
	.section	.rodata,"a",@progbits
	.p2align	6, 0x0
	.amdhsa_kernel _ZN19hipPrintfStressTest26kernel_synchronized_printfEv
		.amdhsa_group_segment_fixed_size 0
		.amdhsa_private_segment_fixed_size 0
		.amdhsa_kernarg_size 256
		.amdhsa_user_sgpr_count 6
		.amdhsa_user_sgpr_private_segment_buffer 1
		.amdhsa_user_sgpr_dispatch_ptr 0
		.amdhsa_user_sgpr_queue_ptr 0
		.amdhsa_user_sgpr_kernarg_segment_ptr 1
		.amdhsa_user_sgpr_dispatch_id 0
		.amdhsa_user_sgpr_flat_scratch_init 0
		.amdhsa_user_sgpr_kernarg_preload_length 0
		.amdhsa_user_sgpr_kernarg_preload_offset 0
		.amdhsa_user_sgpr_private_segment_size 0
		.amdhsa_uses_dynamic_stack 0
		.amdhsa_system_sgpr_private_segment_wavefront_offset 0
		.amdhsa_system_sgpr_workgroup_id_x 1
		.amdhsa_system_sgpr_workgroup_id_y 0
		.amdhsa_system_sgpr_workgroup_id_z 0
		.amdhsa_system_sgpr_workgroup_info 0
		.amdhsa_system_vgpr_workitem_id 0
		.amdhsa_next_free_vgpr 36
		.amdhsa_next_free_sgpr 23
		.amdhsa_accum_offset 36
		.amdhsa_reserve_vcc 1
		.amdhsa_reserve_flat_scratch 0
		.amdhsa_float_round_mode_32 0
		.amdhsa_float_round_mode_16_64 0
		.amdhsa_float_denorm_mode_32 3
		.amdhsa_float_denorm_mode_16_64 3
		.amdhsa_dx10_clamp 1
		.amdhsa_ieee_mode 1
		.amdhsa_fp16_overflow 0
		.amdhsa_tg_split 0
		.amdhsa_exception_fp_ieee_invalid_op 0
		.amdhsa_exception_fp_denorm_src 0
		.amdhsa_exception_fp_ieee_div_zero 0
		.amdhsa_exception_fp_ieee_overflow 0
		.amdhsa_exception_fp_ieee_underflow 0
		.amdhsa_exception_fp_ieee_inexact 0
		.amdhsa_exception_int_div_zero 0
	.end_amdhsa_kernel
	.text
.Lfunc_end8:
	.size	_ZN19hipPrintfStressTest26kernel_synchronized_printfEv, .Lfunc_end8-_ZN19hipPrintfStressTest26kernel_synchronized_printfEv
                                        ; -- End function
	.section	.AMDGPU.csdata,"",@progbits
; Kernel info:
; codeLenInByte = 28916
; NumSgprs: 27
; NumVgprs: 36
; NumAgprs: 0
; TotalNumVgprs: 36
; ScratchSize: 0
; MemoryBound: 0
; FloatMode: 240
; IeeeMode: 1
; LDSByteSize: 0 bytes/workgroup (compile time only)
; SGPRBlocks: 3
; VGPRBlocks: 4
; NumSGPRsForWavesPerEU: 27
; NumVGPRsForWavesPerEU: 36
; AccumOffset: 36
; Occupancy: 8
; WaveLimiterHint : 1
; COMPUTE_PGM_RSRC2:SCRATCH_EN: 0
; COMPUTE_PGM_RSRC2:USER_SGPR: 6
; COMPUTE_PGM_RSRC2:TRAP_HANDLER: 0
; COMPUTE_PGM_RSRC2:TGID_X_EN: 1
; COMPUTE_PGM_RSRC2:TGID_Y_EN: 0
; COMPUTE_PGM_RSRC2:TGID_Z_EN: 0
; COMPUTE_PGM_RSRC2:TIDIG_COMP_CNT: 0
; COMPUTE_PGM_RSRC3_GFX90A:ACCUM_OFFSET: 8
; COMPUTE_PGM_RSRC3_GFX90A:TG_SPLIT: 0
	.text
	.p2alignl 6, 3212836864
	.fill 256, 4, 3212836864
	.type	.str,@object                    ; @.str
	.section	.rodata.str1.1,"aMS",@progbits,1
.str:
	.asciz	"%s"
	.size	.str, 3

	.type	.str.1,@object                  ; @.str.1
.str.1:
	.asciz	"Hello World from Device.Iam printing 55 bytes of data.\n"
	.size	.str.1, 56

	.type	.str.2,@object                  ; @.str.2
.str.2:
	.asciz	"Hello World from Device.Iam printing from even thread.\n"
	.size	.str.2, 56

	.type	.str.3,@object                  ; @.str.3
.str.3:
	.asciz	"Hello World from Device.This is odd thread.\n"
	.size	.str.3, 45

	.type	.str.4,@object                  ; @.str.4
.str.4:
	.asciz	"Hello World from Device.Iam printing (threadID,number)="
	.size	.str.4, 56

	.type	.str.5,@object                  ; @.str.5
.str.5:
	.asciz	"%s%u,%d\n"
	.size	.str.5, 9

	.type	.str.6,@object                  ; @.str.6
.str.6:
	.asciz	"Hello World from Device.Iam printing number="
	.size	.str.6, 45

	.type	.str.7,@object                  ; @.str.7
.str.7:
	.asciz	"%s%u\n"
	.size	.str.7, 6

	.type	.str.8,@object                  ; @.str.8
.str.8:
	.asciz	"Hello World from Device.Iam printing decimal number="
	.size	.str.8, 53

	.type	.str.9,@object                  ; @.str.9
.str.9:
	.asciz	"%s%.*f %.*e\n"
	.size	.str.9, 13

	.type	.str.10,@object                 ; @.str.10
.str.10:
	.asciz	"Hello World from Device. The sum of all threadID = "
	.size	.str.10, 52

	.type	__hip_cuid_a3b8a9b152df3db8,@object ; @__hip_cuid_a3b8a9b152df3db8
	.section	.bss,"aw",@nobits
	.globl	__hip_cuid_a3b8a9b152df3db8
__hip_cuid_a3b8a9b152df3db8:
	.byte	0                               ; 0x0
	.size	__hip_cuid_a3b8a9b152df3db8, 1

	.ident	"AMD clang version 19.0.0git (https://github.com/RadeonOpenCompute/llvm-project roc-6.4.0 25133 c7fe45cf4b819c5991fe208aaa96edf142730f1d)"
	.section	".note.GNU-stack","",@progbits
	.addrsig
	.addrsig_sym __hip_cuid_a3b8a9b152df3db8
	.amdgpu_metadata
---
amdhsa.kernels:
  - .agpr_count:     0
    .args:
      - .offset:         0
        .size:           4
        .value_kind:     by_value
      - .offset:         8
        .size:           4
        .value_kind:     hidden_block_count_x
      - .offset:         12
        .size:           4
        .value_kind:     hidden_block_count_y
      - .offset:         16
        .size:           4
        .value_kind:     hidden_block_count_z
      - .offset:         20
        .size:           2
        .value_kind:     hidden_group_size_x
      - .offset:         22
        .size:           2
        .value_kind:     hidden_group_size_y
      - .offset:         24
        .size:           2
        .value_kind:     hidden_group_size_z
      - .offset:         26
        .size:           2
        .value_kind:     hidden_remainder_x
      - .offset:         28
        .size:           2
        .value_kind:     hidden_remainder_y
      - .offset:         30
        .size:           2
        .value_kind:     hidden_remainder_z
      - .offset:         48
        .size:           8
        .value_kind:     hidden_global_offset_x
      - .offset:         56
        .size:           8
        .value_kind:     hidden_global_offset_y
      - .offset:         64
        .size:           8
        .value_kind:     hidden_global_offset_z
      - .offset:         72
        .size:           2
        .value_kind:     hidden_grid_dims
      - .offset:         88
        .size:           8
        .value_kind:     hidden_hostcall_buffer
    .group_segment_fixed_size: 0
    .kernarg_segment_align: 8
    .kernarg_segment_size: 264
    .language:       OpenCL C
    .language_version:
      - 2
      - 0
    .max_flat_workgroup_size: 1024
    .name:           _ZN19hipPrintfStressTest22kernel_printf_conststrEj
    .private_segment_fixed_size: 0
    .sgpr_count:     35
    .sgpr_spill_count: 0
    .symbol:         _ZN19hipPrintfStressTest22kernel_printf_conststrEj.kd
    .uniform_work_group_size: 1
    .uses_dynamic_stack: false
    .vgpr_count:     42
    .vgpr_spill_count: 0
    .wavefront_size: 64
  - .agpr_count:     0
    .args:
      - .offset:         0
        .size:           4
        .value_kind:     by_value
      - .offset:         8
        .size:           4
        .value_kind:     hidden_block_count_x
      - .offset:         12
        .size:           4
        .value_kind:     hidden_block_count_y
      - .offset:         16
        .size:           4
        .value_kind:     hidden_block_count_z
      - .offset:         20
        .size:           2
        .value_kind:     hidden_group_size_x
      - .offset:         22
        .size:           2
        .value_kind:     hidden_group_size_y
      - .offset:         24
        .size:           2
        .value_kind:     hidden_group_size_z
      - .offset:         26
        .size:           2
        .value_kind:     hidden_remainder_x
      - .offset:         28
        .size:           2
        .value_kind:     hidden_remainder_y
      - .offset:         30
        .size:           2
        .value_kind:     hidden_remainder_z
      - .offset:         48
        .size:           8
        .value_kind:     hidden_global_offset_x
      - .offset:         56
        .size:           8
        .value_kind:     hidden_global_offset_y
      - .offset:         64
        .size:           8
        .value_kind:     hidden_global_offset_z
      - .offset:         72
        .size:           2
        .value_kind:     hidden_grid_dims
      - .offset:         88
        .size:           8
        .value_kind:     hidden_hostcall_buffer
    .group_segment_fixed_size: 0
    .kernarg_segment_align: 8
    .kernarg_segment_size: 264
    .language:       OpenCL C
    .language_version:
      - 2
      - 0
    .max_flat_workgroup_size: 1024
    .name:           _ZN19hipPrintfStressTest32kernel_printf_two_conditionalstrEj
    .private_segment_fixed_size: 0
    .sgpr_count:     42
    .sgpr_spill_count: 0
    .symbol:         _ZN19hipPrintfStressTest32kernel_printf_two_conditionalstrEj.kd
    .uniform_work_group_size: 1
    .uses_dynamic_stack: false
    .vgpr_count:     42
    .vgpr_spill_count: 0
    .wavefront_size: 64
  - .agpr_count:     0
    .args:
      - .offset:         0
        .size:           4
        .value_kind:     by_value
      - .offset:         8
        .size:           4
        .value_kind:     hidden_block_count_x
      - .offset:         12
        .size:           4
        .value_kind:     hidden_block_count_y
      - .offset:         16
        .size:           4
        .value_kind:     hidden_block_count_z
      - .offset:         20
        .size:           2
        .value_kind:     hidden_group_size_x
      - .offset:         22
        .size:           2
        .value_kind:     hidden_group_size_y
      - .offset:         24
        .size:           2
        .value_kind:     hidden_group_size_z
      - .offset:         26
        .size:           2
        .value_kind:     hidden_remainder_x
      - .offset:         28
        .size:           2
        .value_kind:     hidden_remainder_y
      - .offset:         30
        .size:           2
        .value_kind:     hidden_remainder_z
      - .offset:         48
        .size:           8
        .value_kind:     hidden_global_offset_x
      - .offset:         56
        .size:           8
        .value_kind:     hidden_global_offset_y
      - .offset:         64
        .size:           8
        .value_kind:     hidden_global_offset_z
      - .offset:         72
        .size:           2
        .value_kind:     hidden_grid_dims
      - .offset:         88
        .size:           8
        .value_kind:     hidden_hostcall_buffer
    .group_segment_fixed_size: 0
    .kernarg_segment_align: 8
    .kernarg_segment_size: 264
    .language:       OpenCL C
    .language_version:
      - 2
      - 0
    .max_flat_workgroup_size: 1024
    .name:           _ZN19hipPrintfStressTest35kernel_printf_single_conditionalstrEj
    .private_segment_fixed_size: 0
    .sgpr_count:     35
    .sgpr_spill_count: 0
    .symbol:         _ZN19hipPrintfStressTest35kernel_printf_single_conditionalstrEj.kd
    .uniform_work_group_size: 1
    .uses_dynamic_stack: false
    .vgpr_count:     42
    .vgpr_spill_count: 0
    .wavefront_size: 64
  - .agpr_count:     0
    .args:
      - .offset:         0
        .size:           4
        .value_kind:     by_value
      - .address_space:  global
        .offset:         8
        .size:           8
        .value_kind:     global_buffer
      - .offset:         16
        .size:           4
        .value_kind:     hidden_block_count_x
      - .offset:         20
        .size:           4
        .value_kind:     hidden_block_count_y
      - .offset:         24
        .size:           4
        .value_kind:     hidden_block_count_z
      - .offset:         28
        .size:           2
        .value_kind:     hidden_group_size_x
      - .offset:         30
        .size:           2
        .value_kind:     hidden_group_size_y
      - .offset:         32
        .size:           2
        .value_kind:     hidden_group_size_z
      - .offset:         34
        .size:           2
        .value_kind:     hidden_remainder_x
      - .offset:         36
        .size:           2
        .value_kind:     hidden_remainder_y
      - .offset:         38
        .size:           2
        .value_kind:     hidden_remainder_z
      - .offset:         56
        .size:           8
        .value_kind:     hidden_global_offset_x
      - .offset:         64
        .size:           8
        .value_kind:     hidden_global_offset_y
      - .offset:         72
        .size:           8
        .value_kind:     hidden_global_offset_z
      - .offset:         80
        .size:           2
        .value_kind:     hidden_grid_dims
      - .offset:         96
        .size:           8
        .value_kind:     hidden_hostcall_buffer
    .group_segment_fixed_size: 0
    .kernarg_segment_align: 8
    .kernarg_segment_size: 272
    .language:       OpenCL C
    .language_version:
      - 2
      - 0
    .max_flat_workgroup_size: 1024
    .name:           _ZN19hipPrintfStressTest25kernel_printf_variablestrEjPi
    .private_segment_fixed_size: 0
    .sgpr_count:     38
    .sgpr_spill_count: 0
    .symbol:         _ZN19hipPrintfStressTest25kernel_printf_variablestrEjPi.kd
    .uniform_work_group_size: 1
    .uses_dynamic_stack: false
    .vgpr_count:     47
    .vgpr_spill_count: 0
    .wavefront_size: 64
  - .agpr_count:     0
    .args:
      - .offset:         0
        .size:           4
        .value_kind:     by_value
      - .address_space:  global
        .offset:         8
        .size:           8
        .value_kind:     global_buffer
      - .offset:         16
        .size:           4
        .value_kind:     hidden_block_count_x
      - .offset:         20
        .size:           4
        .value_kind:     hidden_block_count_y
      - .offset:         24
        .size:           4
        .value_kind:     hidden_block_count_z
      - .offset:         28
        .size:           2
        .value_kind:     hidden_group_size_x
      - .offset:         30
        .size:           2
        .value_kind:     hidden_group_size_y
      - .offset:         32
        .size:           2
        .value_kind:     hidden_group_size_z
      - .offset:         34
        .size:           2
        .value_kind:     hidden_remainder_x
      - .offset:         36
        .size:           2
        .value_kind:     hidden_remainder_y
      - .offset:         38
        .size:           2
        .value_kind:     hidden_remainder_z
      - .offset:         56
        .size:           8
        .value_kind:     hidden_global_offset_x
      - .offset:         64
        .size:           8
        .value_kind:     hidden_global_offset_y
      - .offset:         72
        .size:           8
        .value_kind:     hidden_global_offset_z
      - .offset:         80
        .size:           2
        .value_kind:     hidden_grid_dims
      - .offset:         96
        .size:           8
        .value_kind:     hidden_hostcall_buffer
    .group_segment_fixed_size: 0
    .kernarg_segment_align: 8
    .kernarg_segment_size: 272
    .language:       OpenCL C
    .language_version:
      - 2
      - 0
    .max_flat_workgroup_size: 1024
    .name:           _ZN19hipPrintfStressTest21kernel_dependent_calcEjPi
    .private_segment_fixed_size: 0
    .sgpr_count:     38
    .sgpr_spill_count: 0
    .symbol:         _ZN19hipPrintfStressTest21kernel_dependent_calcEjPi.kd
    .uniform_work_group_size: 1
    .uses_dynamic_stack: false
    .vgpr_count:     50
    .vgpr_spill_count: 0
    .wavefront_size: 64
  - .agpr_count:     0
    .args:
      - .offset:         0
        .size:           4
        .value_kind:     by_value
      - .address_space:  global
        .offset:         8
        .size:           8
        .value_kind:     global_buffer
      - .offset:         16
        .size:           4
        .value_kind:     hidden_block_count_x
      - .offset:         20
        .size:           4
        .value_kind:     hidden_block_count_y
      - .offset:         24
        .size:           4
        .value_kind:     hidden_block_count_z
      - .offset:         28
        .size:           2
        .value_kind:     hidden_group_size_x
      - .offset:         30
        .size:           2
        .value_kind:     hidden_group_size_y
      - .offset:         32
        .size:           2
        .value_kind:     hidden_group_size_z
      - .offset:         34
        .size:           2
        .value_kind:     hidden_remainder_x
      - .offset:         36
        .size:           2
        .value_kind:     hidden_remainder_y
      - .offset:         38
        .size:           2
        .value_kind:     hidden_remainder_z
      - .offset:         56
        .size:           8
        .value_kind:     hidden_global_offset_x
      - .offset:         64
        .size:           8
        .value_kind:     hidden_global_offset_y
      - .offset:         72
        .size:           8
        .value_kind:     hidden_global_offset_z
      - .offset:         80
        .size:           2
        .value_kind:     hidden_grid_dims
      - .offset:         96
        .size:           8
        .value_kind:     hidden_hostcall_buffer
    .group_segment_fixed_size: 16384
    .kernarg_segment_align: 8
    .kernarg_segment_size: 272
    .language:       OpenCL C
    .language_version:
      - 2
      - 0
    .max_flat_workgroup_size: 1024
    .name:           _ZN19hipPrintfStressTest28kernel_dependent_calc_atomicEjPi
    .private_segment_fixed_size: 0
    .sgpr_count:     38
    .sgpr_spill_count: 0
    .symbol:         _ZN19hipPrintfStressTest28kernel_dependent_calc_atomicEjPi.kd
    .uniform_work_group_size: 1
    .uses_dynamic_stack: false
    .vgpr_count:     50
    .vgpr_spill_count: 0
    .wavefront_size: 64
  - .agpr_count:     0
    .args:
      - .offset:         0
        .size:           4
        .value_kind:     by_value
      - .offset:         4
        .size:           4
        .value_kind:     by_value
      - .offset:         8
        .size:           4
        .value_kind:     hidden_block_count_x
      - .offset:         12
        .size:           4
        .value_kind:     hidden_block_count_y
      - .offset:         16
        .size:           4
        .value_kind:     hidden_block_count_z
      - .offset:         20
        .size:           2
        .value_kind:     hidden_group_size_x
      - .offset:         22
        .size:           2
        .value_kind:     hidden_group_size_y
      - .offset:         24
        .size:           2
        .value_kind:     hidden_group_size_z
      - .offset:         26
        .size:           2
        .value_kind:     hidden_remainder_x
      - .offset:         28
        .size:           2
        .value_kind:     hidden_remainder_y
      - .offset:         30
        .size:           2
        .value_kind:     hidden_remainder_z
      - .offset:         48
        .size:           8
        .value_kind:     hidden_global_offset_x
      - .offset:         56
        .size:           8
        .value_kind:     hidden_global_offset_y
      - .offset:         64
        .size:           8
        .value_kind:     hidden_global_offset_z
      - .offset:         72
        .size:           2
        .value_kind:     hidden_grid_dims
      - .offset:         88
        .size:           8
        .value_kind:     hidden_hostcall_buffer
    .group_segment_fixed_size: 0
    .kernarg_segment_align: 8
    .kernarg_segment_size: 264
    .language:       OpenCL C
    .language_version:
      - 2
      - 0
    .max_flat_workgroup_size: 1024
    .name:           _ZN19hipPrintfStressTest26kernel_decimal_calculationEji
    .private_segment_fixed_size: 0
    .sgpr_count:     43
    .sgpr_spill_count: 0
    .symbol:         _ZN19hipPrintfStressTest26kernel_decimal_calculationEji.kd
    .uniform_work_group_size: 1
    .uses_dynamic_stack: false
    .vgpr_count:     40
    .vgpr_spill_count: 0
    .wavefront_size: 64
  - .agpr_count:     0
    .args:
      - .offset:         0
        .size:           4
        .value_kind:     hidden_block_count_x
      - .offset:         4
        .size:           4
        .value_kind:     hidden_block_count_y
      - .offset:         8
        .size:           4
        .value_kind:     hidden_block_count_z
      - .offset:         12
        .size:           2
        .value_kind:     hidden_group_size_x
      - .offset:         14
        .size:           2
        .value_kind:     hidden_group_size_y
      - .offset:         16
        .size:           2
        .value_kind:     hidden_group_size_z
      - .offset:         18
        .size:           2
        .value_kind:     hidden_remainder_x
      - .offset:         20
        .size:           2
        .value_kind:     hidden_remainder_y
      - .offset:         22
        .size:           2
        .value_kind:     hidden_remainder_z
      - .offset:         40
        .size:           8
        .value_kind:     hidden_global_offset_x
      - .offset:         48
        .size:           8
        .value_kind:     hidden_global_offset_y
      - .offset:         56
        .size:           8
        .value_kind:     hidden_global_offset_z
      - .offset:         64
        .size:           2
        .value_kind:     hidden_grid_dims
      - .offset:         80
        .size:           8
        .value_kind:     hidden_hostcall_buffer
    .group_segment_fixed_size: 4
    .kernarg_segment_align: 8
    .kernarg_segment_size: 256
    .language:       OpenCL C
    .language_version:
      - 2
      - 0
    .max_flat_workgroup_size: 1024
    .name:           _ZN19hipPrintfStressTest17kernel_shared_memEv
    .private_segment_fixed_size: 0
    .sgpr_count:     23
    .sgpr_spill_count: 0
    .symbol:         _ZN19hipPrintfStressTest17kernel_shared_memEv.kd
    .uniform_work_group_size: 1
    .uses_dynamic_stack: false
    .vgpr_count:     37
    .vgpr_spill_count: 0
    .wavefront_size: 64
  - .agpr_count:     0
    .args:
      - .offset:         0
        .size:           4
        .value_kind:     hidden_block_count_x
      - .offset:         4
        .size:           4
        .value_kind:     hidden_block_count_y
      - .offset:         8
        .size:           4
        .value_kind:     hidden_block_count_z
      - .offset:         12
        .size:           2
        .value_kind:     hidden_group_size_x
      - .offset:         14
        .size:           2
        .value_kind:     hidden_group_size_y
      - .offset:         16
        .size:           2
        .value_kind:     hidden_group_size_z
      - .offset:         18
        .size:           2
        .value_kind:     hidden_remainder_x
      - .offset:         20
        .size:           2
        .value_kind:     hidden_remainder_y
      - .offset:         22
        .size:           2
        .value_kind:     hidden_remainder_z
      - .offset:         40
        .size:           8
        .value_kind:     hidden_global_offset_x
      - .offset:         48
        .size:           8
        .value_kind:     hidden_global_offset_y
      - .offset:         56
        .size:           8
        .value_kind:     hidden_global_offset_z
      - .offset:         64
        .size:           2
        .value_kind:     hidden_grid_dims
      - .offset:         80
        .size:           8
        .value_kind:     hidden_hostcall_buffer
    .group_segment_fixed_size: 0
    .kernarg_segment_align: 8
    .kernarg_segment_size: 256
    .language:       OpenCL C
    .language_version:
      - 2
      - 0
    .max_flat_workgroup_size: 1024
    .name:           _ZN19hipPrintfStressTest26kernel_synchronized_printfEv
    .private_segment_fixed_size: 0
    .sgpr_count:     27
    .sgpr_spill_count: 0
    .symbol:         _ZN19hipPrintfStressTest26kernel_synchronized_printfEv.kd
    .uniform_work_group_size: 1
    .uses_dynamic_stack: false
    .vgpr_count:     36
    .vgpr_spill_count: 0
    .wavefront_size: 64
amdhsa.target:   amdgcn-amd-amdhsa--gfx90a
amdhsa.version:
  - 1
  - 2
...

	.end_amdgpu_metadata
